;; amdgpu-corpus repo=ROCm/rocFFT kind=compiled arch=gfx950 opt=O3
	.text
	.amdgcn_target "amdgcn-amd-amdhsa--gfx950"
	.amdhsa_code_object_version 6
	.protected	bluestein_single_back_len1980_dim1_sp_op_CI_CI ; -- Begin function bluestein_single_back_len1980_dim1_sp_op_CI_CI
	.globl	bluestein_single_back_len1980_dim1_sp_op_CI_CI
	.p2align	8
	.type	bluestein_single_back_len1980_dim1_sp_op_CI_CI,@function
bluestein_single_back_len1980_dim1_sp_op_CI_CI: ; @bluestein_single_back_len1980_dim1_sp_op_CI_CI
; %bb.0:
	s_load_dwordx4 s[12:15], s[0:1], 0x28
	v_mul_u32_u24_e32 v1, 0x14b, v0
	v_mov_b32_e32 v63, 0
	v_add_u32_sdwa v64, s2, v1 dst_sel:DWORD dst_unused:UNUSED_PAD src0_sel:DWORD src1_sel:WORD_1
	v_mov_b32_e32 v65, v63
	s_waitcnt lgkmcnt(0)
	v_cmp_gt_u64_e32 vcc, s[12:13], v[64:65]
	s_and_saveexec_b64 s[2:3], vcc
	s_cbranch_execz .LBB0_31
; %bb.1:
	s_load_dwordx2 s[16:17], s[0:1], 0x0
	s_load_dwordx2 s[12:13], s[0:1], 0x38
	s_movk_i32 s2, 0xc6
	v_mul_lo_u16_sdwa v1, v1, s2 dst_sel:DWORD dst_unused:UNUSED_PAD src0_sel:WORD_1 src1_sel:DWORD
	v_sub_u16_e32 v62, v0, v1
	s_movk_i32 s2, 0xb4
	v_cmp_gt_u16_e64 s[6:7], s2, v62
	v_lshlrev_b32_e32 v60, 3, v62
	s_and_saveexec_b64 s[2:3], s[6:7]
	s_cbranch_execz .LBB0_3
; %bb.2:
	s_load_dwordx2 s[4:5], s[0:1], 0x18
	v_mov_b32_e32 v0, s14
	v_mov_b32_e32 v1, s15
	;; [unrolled: 1-line block ×4, first 2 shown]
	s_waitcnt lgkmcnt(0)
	s_load_dwordx4 s[8:11], s[4:5], 0x0
	s_waitcnt lgkmcnt(0)
	v_mad_u64_u32 v[2:3], s[4:5], s10, v64, 0
	v_mad_u64_u32 v[4:5], s[4:5], s8, v62, 0
	v_mov_b32_e32 v6, v3
	v_mov_b32_e32 v8, v5
	v_mad_u64_u32 v[6:7], s[4:5], s11, v64, v[6:7]
	v_mov_b32_e32 v3, v6
	v_mad_u64_u32 v[6:7], s[4:5], s9, v62, v[8:9]
	v_mov_b32_e32 v5, v6
	v_lshl_add_u64 v[0:1], v[2:3], 3, v[0:1]
	v_lshl_add_u64 v[0:1], v[4:5], 3, v[0:1]
	global_load_dwordx2 v[2:3], v[0:1], off
	v_mad_u64_u32 v[0:1], s[4:5], s8, v44, v[0:1]
	s_mulk_i32 s9, 0x5a0
	v_add_u32_e32 v1, s9, v1
	v_mad_u64_u32 v[6:7], s[4:5], s8, v44, v[0:1]
	v_add_u32_e32 v7, s9, v7
	v_mad_u64_u32 v[14:15], s[4:5], s8, v44, v[6:7]
	v_lshl_add_u64 v[4:5], s[16:17], 0, v[60:61]
	v_add_u32_e32 v15, s9, v15
	s_movk_i32 s4, 0x1000
	v_add_co_u32_e32 v16, vcc, s4, v4
	v_mad_u64_u32 v[18:19], s[4:5], s8, v44, v[14:15]
	v_add_u32_e32 v19, s9, v19
	global_load_dwordx2 v[8:9], v60, s[16:17]
	global_load_dwordx2 v[10:11], v60, s[16:17] offset:1440
	global_load_dwordx2 v[12:13], v60, s[16:17] offset:2880
	v_addc_co_u32_e32 v17, vcc, 0, v5, vcc
	global_load_dwordx2 v[20:21], v[0:1], off
	global_load_dwordx2 v[22:23], v[6:7], off
	;; [unrolled: 1-line block ×4, first 2 shown]
	global_load_dwordx2 v[28:29], v[16:17], off offset:224
	global_load_dwordx2 v[30:31], v[16:17], off offset:1664
	v_mad_u64_u32 v[0:1], s[4:5], s8, v44, v[18:19]
	v_add_u32_e32 v1, s9, v1
	global_load_dwordx2 v[6:7], v[0:1], off
	v_mad_u64_u32 v[0:1], s[4:5], s8, v44, v[0:1]
	v_add_u32_e32 v1, s9, v1
	s_movk_i32 s4, 0x2000
	global_load_dwordx2 v[14:15], v[0:1], off
	v_add_co_u32_e32 v18, vcc, s4, v4
	v_mad_u64_u32 v[0:1], s[4:5], s8, v44, v[0:1]
	v_add_u32_e32 v1, s9, v1
	v_addc_co_u32_e32 v19, vcc, 0, v5, vcc
	global_load_dwordx2 v[32:33], v[16:17], off offset:3104
	global_load_dwordx2 v[34:35], v[18:19], off offset:448
	s_nop 0
	global_load_dwordx2 v[16:17], v[0:1], off
	v_mad_u64_u32 v[0:1], s[4:5], s8, v44, v[0:1]
	v_add_u32_e32 v1, s9, v1
	global_load_dwordx2 v[36:37], v[0:1], off
	global_load_dwordx2 v[38:39], v[18:19], off offset:1888
	global_load_dwordx2 v[40:41], v[18:19], off offset:3328
	v_mad_u64_u32 v[0:1], s[4:5], s8, v44, v[0:1]
	s_movk_i32 s4, 0x3000
	s_nop 0
	v_add_co_u32_e32 v4, vcc, s4, v4
	v_add_u32_e32 v1, s9, v1
	s_nop 0
	v_addc_co_u32_e32 v5, vcc, 0, v5, vcc
	global_load_dwordx2 v[18:19], v[0:1], off
	global_load_dwordx2 v[42:43], v[4:5], off offset:672
	v_mad_u64_u32 v[0:1], s[4:5], s8, v44, v[0:1]
	v_add_u32_e32 v1, s9, v1
	global_load_dwordx2 v[44:45], v[4:5], off offset:2112
	global_load_dwordx2 v[46:47], v[0:1], off
	v_add_u32_e32 v4, 0xa00, v60
	s_waitcnt vmcnt(20)
	v_mul_f32_e32 v0, v3, v9
	v_mul_f32_e32 v1, v2, v9
	v_fmac_f32_e32 v0, v2, v8
	v_fma_f32 v1, v3, v8, -v1
	s_waitcnt vmcnt(17)
	v_mul_f32_e32 v2, v21, v11
	v_mul_f32_e32 v3, v20, v11
	v_fmac_f32_e32 v2, v20, v10
	v_fma_f32 v3, v21, v10, -v3
	ds_write2_b64 v60, v[0:1], v[2:3] offset1:180
	s_waitcnt vmcnt(16)
	v_mul_f32_e32 v0, v23, v13
	v_mul_f32_e32 v1, v22, v13
	s_waitcnt vmcnt(13)
	v_mul_f32_e32 v2, v25, v29
	v_mul_f32_e32 v3, v24, v29
	v_fmac_f32_e32 v0, v22, v12
	v_fma_f32 v1, v23, v12, -v1
	v_fmac_f32_e32 v2, v24, v28
	v_fma_f32 v3, v25, v28, -v3
	ds_write2_b64 v4, v[0:1], v[2:3] offset0:40 offset1:220
	s_waitcnt vmcnt(12)
	v_mul_f32_e32 v0, v27, v31
	v_mul_f32_e32 v1, v26, v31
	v_fmac_f32_e32 v0, v26, v30
	s_waitcnt vmcnt(9)
	v_mul_f32_e32 v2, v7, v33
	v_mul_f32_e32 v3, v6, v33
	v_fma_f32 v1, v27, v30, -v1
	v_fmac_f32_e32 v2, v6, v32
	v_fma_f32 v3, v7, v32, -v3
	v_add_u32_e32 v4, 0x1600, v60
	ds_write2_b64 v4, v[0:1], v[2:3] offset0:16 offset1:196
	s_waitcnt vmcnt(8)
	v_mul_f32_e32 v0, v15, v35
	v_mul_f32_e32 v1, v14, v35
	s_waitcnt vmcnt(5)
	v_mul_f32_e32 v2, v17, v39
	v_mul_f32_e32 v3, v16, v39
	v_fmac_f32_e32 v0, v14, v34
	v_fma_f32 v1, v15, v34, -v1
	v_fmac_f32_e32 v2, v16, v38
	v_fma_f32 v3, v17, v38, -v3
	v_add_u32_e32 v4, 0x2000, v60
	ds_write2_b64 v4, v[0:1], v[2:3] offset0:56 offset1:236
	s_waitcnt vmcnt(4)
	v_mul_f32_e32 v0, v37, v41
	v_mul_f32_e32 v1, v36, v41
	s_waitcnt vmcnt(2)
	v_mul_f32_e32 v2, v19, v43
	v_mul_f32_e32 v3, v18, v43
	v_fmac_f32_e32 v0, v36, v40
	v_fma_f32 v1, v37, v40, -v1
	v_fmac_f32_e32 v2, v18, v42
	v_fma_f32 v3, v19, v42, -v3
	v_add_u32_e32 v4, 0x2c00, v60
	ds_write2_b64 v4, v[0:1], v[2:3] offset0:32 offset1:212
	s_waitcnt vmcnt(0)
	v_mul_f32_e32 v0, v47, v45
	v_mul_f32_e32 v1, v46, v45
	v_fmac_f32_e32 v0, v46, v44
	v_fma_f32 v1, v47, v44, -v1
	ds_write_b64 v60, v[0:1] offset:14400
.LBB0_3:
	s_or_b64 exec, exec, s[2:3]
	s_load_dwordx2 s[2:3], s[0:1], 0x20
	s_load_dwordx2 s[14:15], s[0:1], 0x8
	v_mov_b64_e32 v[0:1], 0
	s_waitcnt lgkmcnt(0)
	s_barrier
	s_waitcnt lgkmcnt(0)
                                        ; implicit-def: $vgpr4
                                        ; implicit-def: $vgpr10
                                        ; implicit-def: $vgpr16
                                        ; implicit-def: $vgpr14
                                        ; implicit-def: $vgpr42
	s_and_saveexec_b64 s[0:1], s[6:7]
	s_cbranch_execz .LBB0_5
; %bb.4:
	v_add_u32_e32 v4, 0xa00, v60
	ds_read2_b64 v[12:15], v4 offset0:40 offset1:220
	v_add_u32_e32 v4, 0x1600, v60
	ds_read2_b64 v[8:11], v4 offset0:16 offset1:196
	v_add_u32_e32 v4, 0x2000, v60
	v_add_u32_e32 v16, 0x2c00, v60
	ds_read2_b64 v[0:3], v60 offset1:180
	ds_read2_b64 v[4:7], v4 offset0:56 offset1:236
	ds_read2_b64 v[16:19], v16 offset0:32 offset1:212
	ds_read_b64 v[42:43], v60 offset:14400
.LBB0_5:
	s_or_b64 exec, exec, s[0:1]
	s_waitcnt lgkmcnt(0)
	v_pk_add_f32 v[36:37], v[2:3], v[42:43] neg_lo:[0,1] neg_hi:[0,1]
	s_mov_b32 s24, 0xbf0a6770
	v_pk_add_f32 v[32:33], v[42:43], v[2:3]
	v_pk_add_f32 v[34:35], v[12:13], v[18:19] neg_lo:[0,1] neg_hi:[0,1]
	s_mov_b32 s10, 0x3f575c64
	v_pk_mul_f32 v[28:29], v[36:37], s[24:25] op_sel_hi:[1,0]
	s_mov_b32 s30, 0xbf68dda4
	v_pk_add_f32 v[30:31], v[18:19], v[12:13]
	v_pk_fma_f32 v[44:45], v[32:33], s[10:11], v[28:29] op_sel:[0,0,1] op_sel_hi:[1,0,0]
	v_pk_fma_f32 v[46:47], v[32:33], s[10:11], v[28:29] op_sel:[0,0,1] op_sel_hi:[1,0,0] neg_lo:[0,0,1] neg_hi:[0,0,1]
	s_mov_b32 s4, 0x3ed4b147
	v_pk_mul_f32 v[38:39], v[34:35], s[30:31] op_sel_hi:[1,0]
	v_mov_b32_e32 v28, v44
	v_mov_b32_e32 v29, v47
	v_pk_fma_f32 v[48:49], v[30:31], s[4:5], v[38:39] op_sel:[0,0,1] op_sel_hi:[1,0,0]
	v_pk_fma_f32 v[50:51], v[30:31], s[4:5], v[38:39] op_sel:[0,0,1] op_sel_hi:[1,0,0] neg_lo:[0,0,1] neg_hi:[0,0,1]
	v_pk_add_f32 v[26:27], v[14:15], v[16:17] neg_lo:[0,1] neg_hi:[0,1]
	v_pk_add_f32 v[28:29], v[28:29], v[0:1]
	v_mov_b32_e32 v38, v48
	v_mov_b32_e32 v39, v51
	s_mov_b32 s18, 0xbf7d64f0
	v_pk_add_f32 v[24:25], v[16:17], v[14:15]
	v_pk_add_f32 v[28:29], v[38:39], v[28:29]
	s_mov_b32 s8, 0xbe11bafb
	v_pk_mul_f32 v[38:39], v[26:27], s[18:19] op_sel_hi:[1,0]
	v_pk_add_f32 v[22:23], v[8:9], v[6:7] neg_lo:[0,1] neg_hi:[0,1]
	v_pk_fma_f32 v[52:53], v[24:25], s[8:9], v[38:39] op_sel:[0,0,1] op_sel_hi:[1,0,0]
	v_pk_fma_f32 v[54:55], v[24:25], s[8:9], v[38:39] op_sel:[0,0,1] op_sel_hi:[1,0,0] neg_lo:[0,0,1] neg_hi:[0,0,1]
	v_mov_b32_e32 v38, v52
	v_mov_b32_e32 v39, v55
	s_mov_b32 s22, 0xbf4178ce
	v_pk_add_f32 v[20:21], v[6:7], v[8:9]
	v_pk_add_f32 v[28:29], v[38:39], v[28:29]
	s_mov_b32 s20, 0xbf27a4f4
	v_pk_mul_f32 v[38:39], v[22:23], s[22:23] op_sel_hi:[1,0]
	s_mov_b32 s28, 0xbe903f40
	v_pk_fma_f32 v[56:57], v[20:21], s[20:21], v[38:39] op_sel:[0,0,1] op_sel_hi:[1,0,0]
	v_pk_fma_f32 v[58:59], v[20:21], s[20:21], v[38:39] op_sel:[0,0,1] op_sel_hi:[1,0,0] neg_lo:[0,0,1] neg_hi:[0,0,1]
	v_mov_b32_e32 v38, v56
	v_mov_b32_e32 v39, v59
	v_pk_add_f32 v[40:41], v[10:11], v[4:5] neg_lo:[0,1] neg_hi:[0,1]
	v_pk_add_f32 v[28:29], v[38:39], v[28:29]
	v_pk_add_f32 v[38:39], v[4:5], v[10:11]
	s_mov_b32 s26, 0xbf75a155
	v_pk_mul_f32 v[68:69], v[40:41], s[28:29] op_sel_hi:[1,0]
	v_mul_lo_u16_e32 v143, 11, v62
	v_pk_fma_f32 v[66:67], v[38:39], s[26:27], v[68:69] op_sel:[0,0,1] op_sel_hi:[1,0,0]
	v_pk_fma_f32 v[68:69], v[38:39], s[26:27], v[68:69] op_sel:[0,0,1] op_sel_hi:[1,0,0] neg_lo:[0,0,1] neg_hi:[0,0,1]
	v_mov_b32_e32 v70, v66
	v_mov_b32_e32 v71, v69
	v_pk_add_f32 v[28:29], v[70:71], v[28:29]
	s_barrier
	s_and_saveexec_b64 s[0:1], s[6:7]
	s_cbranch_execz .LBB0_7
; %bb.6:
	v_pk_add_f32 v[2:3], v[2:3], v[0:1]
	v_mov_b32_e32 v47, v45
	v_pk_add_f32 v[2:3], v[12:13], v[2:3]
	v_mov_b32_e32 v51, v49
	;; [unrolled: 2-line block ×5, first 2 shown]
	v_pk_add_f32 v[2:3], v[4:5], v[2:3]
	v_pk_add_f32 v[4:5], v[46:47], v[0:1]
	;; [unrolled: 1-line block ×8, first 2 shown]
	v_lshlrev_b32_e32 v61, 3, v143
	v_pk_add_f32 v[2:3], v[42:43], v[2:3]
	v_pk_add_f32 v[4:5], v[68:69], v[4:5]
	ds_write2_b64 v61, v[2:3], v[4:5] offset1:1
	v_pk_mul_f32 v[2:3], v[36:37], s[30:31] op_sel_hi:[1,0]
	v_pk_mul_f32 v[8:9], v[34:35], s[22:23] op_sel_hi:[1,0]
	v_pk_fma_f32 v[4:5], v[32:33], s[4:5], v[2:3] op_sel:[0,0,1] op_sel_hi:[1,0,0] neg_lo:[0,0,1] neg_hi:[0,0,1]
	v_pk_fma_f32 v[2:3], v[32:33], s[4:5], v[2:3] op_sel:[0,0,1] op_sel_hi:[1,0,0]
	v_mov_b32_e32 v6, v4
	v_mov_b32_e32 v7, v3
	v_pk_fma_f32 v[10:11], v[30:31], s[20:21], v[8:9] op_sel:[0,0,1] op_sel_hi:[1,0,0] neg_lo:[0,0,1] neg_hi:[0,0,1]
	v_pk_fma_f32 v[8:9], v[30:31], s[20:21], v[8:9] op_sel:[0,0,1] op_sel_hi:[1,0,0]
	v_pk_add_f32 v[6:7], v[6:7], v[0:1]
	v_mov_b32_e32 v12, v10
	v_mov_b32_e32 v13, v9
	s_mov_b32 s30, 0x3e903f40
	v_pk_add_f32 v[6:7], v[12:13], v[6:7]
	v_pk_mul_f32 v[12:13], v[26:27], s[30:31] op_sel_hi:[1,0]
	s_mov_b32 s34, 0x3f7d64f0
	v_pk_fma_f32 v[14:15], v[24:25], s[26:27], v[12:13] op_sel:[0,0,1] op_sel_hi:[1,0,0] neg_lo:[0,0,1] neg_hi:[0,0,1]
	v_pk_fma_f32 v[12:13], v[24:25], s[26:27], v[12:13] op_sel:[0,0,1] op_sel_hi:[1,0,0]
	v_mov_b32_e32 v16, v14
	v_mov_b32_e32 v17, v13
	v_pk_add_f32 v[6:7], v[16:17], v[6:7]
	v_pk_mul_f32 v[16:17], v[22:23], s[34:35] op_sel_hi:[1,0]
	s_mov_b32 s36, 0x3f0a6770
	v_pk_fma_f32 v[18:19], v[20:21], s[8:9], v[16:17] op_sel:[0,0,1] op_sel_hi:[1,0,0] neg_lo:[0,0,1] neg_hi:[0,0,1]
	v_pk_fma_f32 v[16:17], v[20:21], s[8:9], v[16:17] op_sel:[0,0,1] op_sel_hi:[1,0,0]
	v_mov_b32_e32 v42, v18
	v_mov_b32_e32 v43, v17
	v_pk_add_f32 v[6:7], v[42:43], v[6:7]
	v_pk_mul_f32 v[42:43], v[40:41], s[36:37] op_sel_hi:[1,0]
	v_pk_mul_f32 v[48:49], v[34:35], s[30:31] op_sel_hi:[1,0]
	v_pk_fma_f32 v[44:45], v[38:39], s[10:11], v[42:43] op_sel:[0,0,1] op_sel_hi:[1,0,0] neg_lo:[0,0,1] neg_hi:[0,0,1]
	v_pk_fma_f32 v[42:43], v[38:39], s[10:11], v[42:43] op_sel:[0,0,1] op_sel_hi:[1,0,0]
	v_mov_b32_e32 v46, v44
	v_mov_b32_e32 v47, v43
	v_pk_add_f32 v[6:7], v[46:47], v[6:7]
	v_pk_mul_f32 v[46:47], v[36:37], s[18:19] op_sel_hi:[1,0]
	v_pk_fma_f32 v[54:55], v[30:31], s[26:27], v[48:49] op_sel:[0,0,1] op_sel_hi:[1,0,0] neg_lo:[0,0,1] neg_hi:[0,0,1]
	v_pk_fma_f32 v[50:51], v[32:33], s[8:9], v[46:47] op_sel:[0,0,1] op_sel_hi:[1,0,0] neg_lo:[0,0,1] neg_hi:[0,0,1]
	v_pk_fma_f32 v[46:47], v[32:33], s[8:9], v[46:47] op_sel:[0,0,1] op_sel_hi:[1,0,0]
	v_mov_b32_e32 v52, v50
	v_mov_b32_e32 v53, v47
	v_pk_fma_f32 v[48:49], v[30:31], s[26:27], v[48:49] op_sel:[0,0,1] op_sel_hi:[1,0,0]
	v_pk_add_f32 v[52:53], v[52:53], v[0:1]
	v_mov_b32_e32 v56, v54
	v_mov_b32_e32 v57, v49
	s_mov_b32 s30, 0x3f68dda4
	v_pk_add_f32 v[52:53], v[56:57], v[52:53]
	v_pk_mul_f32 v[56:57], v[26:27], s[30:31] op_sel_hi:[1,0]
	v_pk_mul_f32 v[76:77], v[34:35], s[34:35] op_sel_hi:[1,0]
	v_pk_fma_f32 v[58:59], v[24:25], s[4:5], v[56:57] op_sel:[0,0,1] op_sel_hi:[1,0,0] neg_lo:[0,0,1] neg_hi:[0,0,1]
	v_pk_fma_f32 v[56:57], v[24:25], s[4:5], v[56:57] op_sel:[0,0,1] op_sel_hi:[1,0,0]
	v_mov_b32_e32 v66, v58
	v_mov_b32_e32 v67, v57
	v_pk_add_f32 v[52:53], v[66:67], v[52:53]
	v_pk_mul_f32 v[66:67], v[22:23], s[24:25] op_sel_hi:[1,0]
	v_pk_fma_f32 v[78:79], v[30:31], s[8:9], v[76:77] op_sel:[0,0,1] op_sel_hi:[1,0,0] neg_lo:[0,0,1] neg_hi:[0,0,1]
	v_pk_fma_f32 v[68:69], v[20:21], s[10:11], v[66:67] op_sel:[0,0,1] op_sel_hi:[1,0,0] neg_lo:[0,0,1] neg_hi:[0,0,1]
	v_pk_fma_f32 v[66:67], v[20:21], s[10:11], v[66:67] op_sel:[0,0,1] op_sel_hi:[1,0,0]
	v_mov_b32_e32 v70, v68
	v_mov_b32_e32 v71, v67
	v_pk_add_f32 v[52:53], v[70:71], v[52:53]
	v_pk_mul_f32 v[70:71], v[40:41], s[22:23] op_sel_hi:[1,0]
	v_pk_fma_f32 v[76:77], v[30:31], s[8:9], v[76:77] op_sel:[0,0,1] op_sel_hi:[1,0,0]
	v_pk_fma_f32 v[72:73], v[38:39], s[20:21], v[70:71] op_sel:[0,0,1] op_sel_hi:[1,0,0] neg_lo:[0,0,1] neg_hi:[0,0,1]
	v_pk_fma_f32 v[70:71], v[38:39], s[20:21], v[70:71] op_sel:[0,0,1] op_sel_hi:[1,0,0]
	v_mov_b32_e32 v74, v72
	v_mov_b32_e32 v75, v71
	v_pk_add_f32 v[52:53], v[74:75], v[52:53]
	ds_write2_b64 v61, v[6:7], v[52:53] offset0:2 offset1:3
	v_pk_mul_f32 v[6:7], v[36:37], s[22:23] op_sel_hi:[1,0]
	v_mov_b32_e32 v80, v78
	v_pk_fma_f32 v[52:53], v[32:33], s[20:21], v[6:7] op_sel:[0,0,1] op_sel_hi:[1,0,0] neg_lo:[0,0,1] neg_hi:[0,0,1]
	v_pk_fma_f32 v[6:7], v[32:33], s[20:21], v[6:7] op_sel:[0,0,1] op_sel_hi:[1,0,0]
	v_mov_b32_e32 v74, v52
	v_mov_b32_e32 v75, v7
	v_pk_add_f32 v[74:75], v[74:75], v[0:1]
	v_mov_b32_e32 v81, v77
	v_pk_add_f32 v[74:75], v[80:81], v[74:75]
	v_pk_mul_f32 v[80:81], v[26:27], s[24:25] op_sel_hi:[1,0]
	v_pk_mul_f32 v[36:37], v[36:37], s[28:29] op_sel_hi:[1,0]
	v_pk_fma_f32 v[82:83], v[24:25], s[10:11], v[80:81] op_sel:[0,0,1] op_sel_hi:[1,0,0] neg_lo:[0,0,1] neg_hi:[0,0,1]
	v_pk_fma_f32 v[80:81], v[24:25], s[10:11], v[80:81] op_sel:[0,0,1] op_sel_hi:[1,0,0]
	v_mov_b32_e32 v84, v82
	v_mov_b32_e32 v85, v81
	v_pk_add_f32 v[74:75], v[84:85], v[74:75]
	v_pk_mul_f32 v[84:85], v[22:23], s[28:29] op_sel_hi:[1,0]
	v_pk_mul_f32 v[34:35], v[34:35], s[36:37] op_sel_hi:[1,0]
	v_pk_fma_f32 v[86:87], v[20:21], s[26:27], v[84:85] op_sel:[0,0,1] op_sel_hi:[1,0,0] neg_lo:[0,0,1] neg_hi:[0,0,1]
	v_pk_fma_f32 v[84:85], v[20:21], s[26:27], v[84:85] op_sel:[0,0,1] op_sel_hi:[1,0,0]
	v_mov_b32_e32 v88, v86
	;; [unrolled: 7-line block ×3, first 2 shown]
	v_mov_b32_e32 v93, v89
	v_pk_add_f32 v[74:75], v[92:93], v[74:75]
	v_pk_fma_f32 v[92:93], v[32:33], s[26:27], v[36:37] op_sel:[0,0,1] op_sel_hi:[1,0,0] neg_lo:[0,0,1] neg_hi:[0,0,1]
	v_pk_fma_f32 v[32:33], v[32:33], s[26:27], v[36:37] op_sel:[0,0,1] op_sel_hi:[1,0,0]
	v_pk_fma_f32 v[36:37], v[30:31], s[10:11], v[34:35] op_sel:[0,0,1] op_sel_hi:[1,0,0] neg_lo:[0,0,1] neg_hi:[0,0,1]
	v_pk_fma_f32 v[30:31], v[30:31], s[10:11], v[34:35] op_sel:[0,0,1] op_sel_hi:[1,0,0]
	v_mov_b32_e32 v34, v92
	v_mov_b32_e32 v35, v33
	v_pk_add_f32 v[34:35], v[34:35], v[0:1]
	v_mov_b32_e32 v94, v36
	v_mov_b32_e32 v95, v31
	v_pk_add_f32 v[34:35], v[94:95], v[34:35]
	v_pk_fma_f32 v[94:95], v[24:25], s[20:21], v[26:27] op_sel:[0,0,1] op_sel_hi:[1,0,0] neg_lo:[0,0,1] neg_hi:[0,0,1]
	v_pk_fma_f32 v[24:25], v[24:25], s[20:21], v[26:27] op_sel:[0,0,1] op_sel_hi:[1,0,0]
	v_mov_b32_e32 v26, v94
	v_mov_b32_e32 v27, v25
	v_pk_mul_f32 v[22:23], v[22:23], s[30:31] op_sel_hi:[1,0]
	v_pk_add_f32 v[26:27], v[26:27], v[34:35]
	v_pk_fma_f32 v[34:35], v[20:21], s[4:5], v[22:23] op_sel:[0,0,1] op_sel_hi:[1,0,0] neg_lo:[0,0,1] neg_hi:[0,0,1]
	v_pk_fma_f32 v[20:21], v[20:21], s[4:5], v[22:23] op_sel:[0,0,1] op_sel_hi:[1,0,0]
	v_mov_b32_e32 v22, v34
	v_mov_b32_e32 v23, v21
	v_pk_add_f32 v[22:23], v[22:23], v[26:27]
	v_pk_mul_f32 v[26:27], v[40:41], s[18:19] op_sel_hi:[1,0]
	v_mov_b32_e32 v33, v93
	v_pk_fma_f32 v[40:41], v[38:39], s[8:9], v[26:27] op_sel:[0,0,1] op_sel_hi:[1,0,0] neg_lo:[0,0,1] neg_hi:[0,0,1]
	v_pk_fma_f32 v[26:27], v[38:39], s[8:9], v[26:27] op_sel:[0,0,1] op_sel_hi:[1,0,0]
	v_mov_b32_e32 v38, v40
	v_mov_b32_e32 v39, v27
	v_pk_add_f32 v[22:23], v[38:39], v[22:23]
	v_mov_b32_e32 v7, v53
	ds_write2_b64 v61, v[74:75], v[22:23] offset0:4 offset1:5
	v_mov_b32_e32 v31, v37
	v_pk_add_f32 v[22:23], v[32:33], v[0:1]
	v_mov_b32_e32 v77, v79
	v_pk_add_f32 v[6:7], v[6:7], v[0:1]
	v_pk_add_f32 v[22:23], v[30:31], v[22:23]
	v_mov_b32_e32 v25, v95
	v_pk_add_f32 v[6:7], v[76:77], v[6:7]
	v_mov_b32_e32 v81, v83
	;; [unrolled: 2-line block ×6, first 2 shown]
	v_pk_add_f32 v[20:21], v[26:27], v[20:21]
	v_pk_add_f32 v[6:7], v[88:89], v[6:7]
	v_mov_b32_e32 v47, v51
	v_mov_b32_e32 v3, v5
	ds_write2_b64 v61, v[20:21], v[6:7] offset0:6 offset1:7
	v_pk_add_f32 v[6:7], v[46:47], v[0:1]
	v_mov_b32_e32 v49, v55
	v_pk_add_f32 v[0:1], v[2:3], v[0:1]
	v_mov_b32_e32 v9, v11
	;; [unrolled: 2-line block ×8, first 2 shown]
	v_pk_add_f32 v[6:7], v[70:71], v[6:7]
	v_pk_add_f32 v[0:1], v[42:43], v[0:1]
	ds_write2_b64 v61, v[6:7], v[0:1] offset0:8 offset1:9
	ds_write_b64 v61, v[28:29] offset:80
.LBB0_7:
	s_or_b64 exec, exec, s[0:1]
	s_mov_b64 s[0:1], 0xc6
	v_lshl_add_u64 v[34:35], v[62:63], 0, s[0:1]
	s_mov_b64 s[0:1], 0x18c
	v_lshl_add_u64 v[32:33], v[62:63], 0, s[0:1]
	;; [unrolled: 2-line block ×3, first 2 shown]
	s_movk_i32 s0, 0x75
	v_mul_lo_u16_sdwa v1, v62, s0 dst_sel:DWORD dst_unused:UNUSED_PAD src0_sel:BYTE_0 src1_sel:DWORD
	v_sub_u16_sdwa v2, v62, v1 dst_sel:DWORD dst_unused:UNUSED_PAD src0_sel:DWORD src1_sel:BYTE_1
	s_mov_b32 s0, 0xba2f
	v_lshrrev_b16_e32 v2, 1, v2
	v_mul_u32_u24_sdwa v9, v0, s0 dst_sel:DWORD dst_unused:UNUSED_PAD src0_sel:WORD_0 src1_sel:DWORD
	v_and_b32_e32 v2, 0x7f, v2
	v_add_u16_e32 v33, 0x252, v62
	v_lshrrev_b32_e32 v35, 19, v9
	v_add_u16_sdwa v1, v2, v1 dst_sel:DWORD dst_unused:UNUSED_PAD src0_sel:DWORD src1_sel:BYTE_1
	v_mul_u32_u24_sdwa v6, v34, s0 dst_sel:DWORD dst_unused:UNUSED_PAD src0_sel:WORD_0 src1_sel:DWORD
	v_mul_u32_u24_e32 v4, 0xba2f, v33
	v_mul_lo_u16_e32 v9, 11, v35
	v_lshrrev_b16_e32 v7, 3, v1
	v_lshrrev_b32_e32 v24, 19, v6
	v_mul_u32_u24_sdwa v5, v32, s0 dst_sel:DWORD dst_unused:UNUSED_PAD src0_sel:WORD_0 src1_sel:DWORD
	v_lshrrev_b32_e32 v30, 19, v4
	v_sub_u16_e32 v38, v0, v9
	v_mul_lo_u16_e32 v1, 11, v7
	v_mul_lo_u16_e32 v2, 11, v24
	v_lshrrev_b32_e32 v26, 19, v5
	v_mul_lo_u16_e32 v8, 11, v30
	v_lshlrev_b32_e32 v0, 3, v38
	s_load_dwordx4 s[8:11], s[2:3], 0x0
	s_waitcnt lgkmcnt(0)
	s_barrier
	v_sub_u16_e32 v1, v62, v1
	v_sub_u16_e32 v25, v34, v2
	v_mul_lo_u16_e32 v3, 11, v26
	global_load_dwordx2 v[74:75], v0, s[14:15]
	v_sub_u16_e32 v31, v33, v8
	v_lshlrev_b32_e32 v2, 3, v25
	v_sub_u16_e32 v27, v32, v3
	v_lshlrev_b32_e32 v0, 3, v31
	v_and_b32_e32 v36, 0xff, v1
	v_lshlrev_b32_e32 v3, 3, v27
	global_load_dwordx2 v[66:67], v2, s[14:15]
	global_load_dwordx2 v[70:71], v3, s[14:15]
	;; [unrolled: 1-line block ×3, first 2 shown]
	v_lshlrev_b32_e32 v0, 3, v36
	global_load_dwordx2 v[68:69], v0, s[14:15]
	v_mov_b32_e32 v0, 3
	v_lshlrev_b32_sdwa v63, v0, v62 dst_sel:DWORD dst_unused:UNUSED_PAD src0_sel:DWORD src1_sel:WORD_0
	v_add_u32_e32 v8, 0x1800, v63
	v_add_u32_e32 v12, 0x3000, v63
	;; [unrolled: 1-line block ×4, first 2 shown]
	ds_read2_b64 v[0:3], v63 offset1:198
	ds_read2_b64 v[8:11], v8 offset0:24 offset1:222
	ds_read2_b64 v[12:15], v12 offset0:48 offset1:246
	;; [unrolled: 1-line block ×4, first 2 shown]
	v_mad_legacy_u16 v24, v24, 22, v25
	v_mad_legacy_u16 v25, v26, 22, v27
	v_lshlrev_b32_e32 v146, 3, v24
	v_lshlrev_b32_e32 v145, 3, v25
	v_mad_legacy_u16 v30, v30, 22, v31
	v_lshlrev_b32_e32 v144, 3, v30
	v_mul_u32_u24_e32 v7, 22, v7
	v_add_lshl_u32 v147, v7, v36, 3
	s_waitcnt lgkmcnt(0)
	s_barrier
	v_add_u32_e32 v7, 0x1400, v63
	s_movk_i32 s0, 0x41
	s_movk_i32 s18, 0x42
	v_cmp_lt_u16_e64 s[4:5], s0, v62
	v_cmp_gt_u16_e64 s[2:3], s18, v62
                                        ; implicit-def: $vgpr42
                                        ; implicit-def: $vgpr44
	s_waitcnt vmcnt(4)
	v_pk_mul_f32 v[24:25], v[14:15], v[74:75] op_sel:[0,1]
	s_nop 0
	v_pk_fma_f32 v[26:27], v[14:15], v[74:75], v[24:25] op_sel:[0,0,1] op_sel_hi:[1,0,0]
	v_pk_fma_f32 v[14:15], v[14:15], v[74:75], v[24:25] op_sel:[0,0,1] op_sel_hi:[1,0,0] neg_lo:[0,0,1] neg_hi:[0,0,1]
	s_waitcnt vmcnt(2)
	v_pk_mul_f32 v[24:25], v[22:23], v[70:71] op_sel:[0,1]
	v_mov_b32_e32 v15, v27
	v_pk_add_f32 v[40:41], v[8:9], v[14:15] neg_lo:[0,1] neg_hi:[0,1]
	s_waitcnt vmcnt(1)
	v_pk_mul_f32 v[14:15], v[12:13], v[72:73] op_sel:[0,1]
	v_pk_mul_f32 v[26:27], v[20:21], v[66:67] op_sel:[0,1]
	s_waitcnt vmcnt(0)
	v_pk_mul_f32 v[30:31], v[10:11], v[68:69] op_sel:[0,1]
	v_pk_fma_f32 v[36:37], v[12:13], v[72:73], v[14:15] op_sel:[0,0,1] op_sel_hi:[1,1,0] neg_lo:[0,0,1] neg_hi:[0,0,1]
	v_pk_fma_f32 v[12:13], v[12:13], v[72:73], v[14:15] op_sel:[0,0,1] op_sel_hi:[1,0,0]
	v_pk_fma_f32 v[14:15], v[22:23], v[70:71], v[24:25] op_sel:[0,0,1] op_sel_hi:[1,1,0] neg_lo:[0,0,1] neg_hi:[0,0,1]
	v_pk_fma_f32 v[22:23], v[22:23], v[70:71], v[24:25] op_sel:[0,0,1] op_sel_hi:[1,0,0]
	;; [unrolled: 2-line block ×4, first 2 shown]
	v_mov_b32_e32 v15, v23
	v_mov_b32_e32 v27, v11
	;; [unrolled: 1-line block ×3, first 2 shown]
	v_pk_add_f32 v[20:21], v[0:1], v[26:27] neg_lo:[0,1] neg_hi:[0,1]
	v_mov_b32_e32 v37, v13
	v_pk_add_f32 v[12:13], v[16:17], v[14:15] neg_lo:[0,1] neg_hi:[0,1]
	v_pk_add_f32 v[14:15], v[2:3], v[24:25] neg_lo:[0,1] neg_hi:[0,1]
	v_pk_fma_f32 v[0:1], v[0:1], 2.0, v[20:21] op_sel_hi:[1,0,1] neg_lo:[0,0,1] neg_hi:[0,0,1]
	ds_write2_b64 v147, v[0:1], v[20:21] offset1:11
	v_pk_fma_f32 v[0:1], v[2:3], 2.0, v[14:15] op_sel_hi:[1,0,1] neg_lo:[0,0,1] neg_hi:[0,0,1]
	v_pk_add_f32 v[10:11], v[18:19], v[36:37] neg_lo:[0,1] neg_hi:[0,1]
	ds_write2_b64 v146, v[0:1], v[14:15] offset1:11
	v_pk_fma_f32 v[0:1], v[16:17], 2.0, v[12:13] op_sel_hi:[1,0,1] neg_lo:[0,0,1] neg_hi:[0,0,1]
	ds_write2_b64 v145, v[0:1], v[12:13] offset1:11
	v_pk_fma_f32 v[0:1], v[18:19], 2.0, v[10:11] op_sel_hi:[1,0,1] neg_lo:[0,0,1] neg_hi:[0,0,1]
	ds_write2_b64 v144, v[0:1], v[10:11] offset1:11
	v_mad_legacy_u16 v0, v35, 22, v38
	v_lshlrev_b32_e32 v148, 3, v0
	v_pk_fma_f32 v[0:1], v[8:9], 2.0, v[40:41] op_sel_hi:[1,0,1] neg_lo:[0,0,1] neg_hi:[0,0,1]
	ds_write2_b64 v148, v[0:1], v[40:41] offset1:11
	s_waitcnt lgkmcnt(0)
	s_barrier
	ds_read2_b64 v[24:27], v7 offset0:20 offset1:218
	v_add_u32_e32 v7, 0x2800, v63
	ds_read2_b64 v[0:3], v63 offset1:198
	ds_read2_b64 v[20:23], v7 offset0:40 offset1:238
	ds_read_b64 v[30:31], v63 offset:3168
	ds_read_b64 v[38:39], v63 offset:8448
	;; [unrolled: 1-line block ×3, first 2 shown]
	s_and_saveexec_b64 s[0:1], s[2:3]
	s_cbranch_execz .LBB0_9
; %bb.8:
	ds_read_b64 v[42:43], v63 offset:15312
	ds_read_b64 v[40:41], v63 offset:4752
	ds_read_b64 v[28:29], v63 offset:10032
	s_waitcnt lgkmcnt(2)
	v_mov_b32_e32 v44, v43
.LBB0_9:
	s_or_b64 exec, exec, s[0:1]
	v_lshrrev_b32_e32 v35, 20, v6
	v_lshrrev_b16_e32 v7, 1, v62
	v_mul_lo_u16_e32 v6, 22, v35
	v_lshrrev_b32_e32 v56, 20, v5
	v_and_b32_e32 v7, 0x7f, v7
	v_sub_u16_e32 v43, v34, v6
	v_mul_lo_u16_e32 v5, 22, v56
	v_lshrrev_b32_e32 v65, 20, v4
	v_mul_lo_u16_e32 v8, 0xbb, v7
	v_lshlrev_b16_e32 v6, 4, v43
	v_mov_b32_e32 v7, 0
	v_sub_u16_e32 v57, v32, v5
	v_mul_lo_u16_e32 v4, 22, v65
	v_lshl_add_u64 v[46:47], s[14:15], 0, v[6:7]
	v_lshlrev_b16_e32 v6, 4, v57
	v_sub_u16_e32 v142, v33, v4
	v_lshl_add_u64 v[48:49], s[14:15], 0, v[6:7]
	v_lshlrev_b16_e32 v6, 4, v142
	v_lshl_add_u64 v[4:5], s[14:15], 0, v[6:7]
	v_lshrrev_b16_e32 v45, 11, v8
	global_load_dwordx4 v[4:7], v[4:5], off offset:88
	v_mul_lo_u16_e32 v8, 22, v45
	v_sub_u16_e32 v8, v62, v8
	v_and_b32_e32 v50, 0xff, v8
	v_lshlrev_b32_e32 v51, 4, v50
	global_load_dwordx4 v[16:19], v51, s[14:15] offset:88
	global_load_dwordx4 v[12:15], v[46:47], off offset:88
	global_load_dwordx4 v[8:11], v[48:49], off offset:88
	s_waitcnt lgkmcnt(0)
	v_mov_b32_e32 v46, v29
	v_mad_legacy_u16 v29, v35, s18, v43
	v_mul_u32_u24_e32 v35, 0x42, v45
	v_lshlrev_b32_e32 v149, 3, v29
	v_add_lshl_u32 v150, v35, v50, 3
	s_mov_b32 s0, 0x3f5db3d7
	s_barrier
	s_waitcnt vmcnt(3)
	v_pk_mul_f32 v[46:47], v[46:47], v[4:5] op_sel_hi:[0,1]
	v_pk_mul_f32 v[44:45], v[44:45], v[6:7] op_sel_hi:[0,1]
	v_pk_fma_f32 v[48:49], v[28:29], v[4:5], v[46:47] op_sel:[0,0,1] op_sel_hi:[0,1,0]
	v_pk_fma_f32 v[28:29], v[28:29], v[4:5], v[46:47] op_sel:[0,0,1] op_sel_hi:[0,1,0] neg_lo:[0,0,1] neg_hi:[0,0,1]
	v_pk_fma_f32 v[46:47], v[42:43], v[6:7], v[44:45] op_sel:[0,0,1] op_sel_hi:[0,1,0]
	v_pk_fma_f32 v[42:43], v[42:43], v[6:7], v[44:45] op_sel:[0,0,1] op_sel_hi:[0,1,0] neg_lo:[0,0,1] neg_hi:[0,0,1]
	s_waitcnt vmcnt(2)
	v_pk_mul_f32 v[44:45], v[24:25], v[16:17] op_sel:[0,1]
	v_mov_b32_e32 v46, v19
	s_waitcnt vmcnt(1)
	v_pk_mul_f32 v[50:51], v[26:27], v[12:13] op_sel:[0,1]
	v_mov_b32_e32 v48, v15
	v_mov_b32_e32 v29, v49
	v_mov_b32_e32 v43, v47
	v_pk_fma_f32 v[52:53], v[24:25], v[16:17], v[44:45] op_sel:[0,0,1] op_sel_hi:[1,1,0] neg_lo:[0,0,1] neg_hi:[0,0,1]
	v_pk_fma_f32 v[24:25], v[24:25], v[16:17], v[44:45] op_sel:[0,0,1] op_sel_hi:[1,0,0]
	v_pk_mul_f32 v[44:45], v[20:21], v[46:47] op_sel_hi:[1,0]
	v_pk_fma_f32 v[54:55], v[26:27], v[12:13], v[50:51] op_sel:[0,0,1] op_sel_hi:[1,1,0] neg_lo:[0,0,1] neg_hi:[0,0,1]
	v_pk_fma_f32 v[26:27], v[26:27], v[12:13], v[50:51] op_sel:[0,0,1] op_sel_hi:[1,0,0]
	v_pk_mul_f32 v[46:47], v[22:23], v[48:49] op_sel_hi:[1,0]
	v_pk_add_f32 v[48:49], v[40:41], v[28:29]
	v_pk_add_f32 v[50:51], v[28:29], v[42:43]
	v_pk_add_f32 v[28:29], v[28:29], v[42:43] neg_lo:[0,1] neg_hi:[0,1]
	v_mov_b32_e32 v53, v25
	v_pk_fma_f32 v[24:25], v[20:21], v[18:19], v[44:45] op_sel:[0,0,1] op_sel_hi:[1,1,0] neg_lo:[0,0,1] neg_hi:[0,0,1]
	v_pk_fma_f32 v[20:21], v[20:21], v[18:19], v[44:45] op_sel:[0,0,1] op_sel_hi:[1,0,0]
	v_mov_b32_e32 v55, v27
	v_pk_fma_f32 v[26:27], v[22:23], v[14:15], v[46:47] op_sel:[0,0,1] op_sel_hi:[1,1,0] neg_lo:[0,0,1] neg_hi:[0,0,1]
	v_pk_fma_f32 v[22:23], v[22:23], v[14:15], v[46:47] op_sel:[0,0,1] op_sel_hi:[1,0,0]
	v_pk_fma_f32 v[40:41], v[50:51], 0.5, v[40:41] op_sel_hi:[1,0,1] neg_lo:[1,0,0] neg_hi:[1,0,0]
	v_pk_mul_f32 v[28:29], v[28:29], s[0:1] op_sel_hi:[1,0]
	v_mov_b32_e32 v25, v21
	v_pk_add_f32 v[20:21], v[0:1], v[52:53]
	v_pk_add_f32 v[44:45], v[48:49], v[42:43]
	v_mov_b32_e32 v27, v23
	v_pk_add_f32 v[46:47], v[40:41], v[28:29] op_sel:[0,1] op_sel_hi:[1,0] neg_lo:[0,1] neg_hi:[0,1]
	v_pk_add_f32 v[48:49], v[28:29], v[40:41] op_sel:[1,0] op_sel_hi:[0,1]
	v_pk_add_f32 v[20:21], v[20:21], v[24:25]
	v_pk_add_f32 v[28:29], v[52:53], v[24:25]
	v_pk_add_f32 v[24:25], v[52:53], v[24:25] neg_lo:[0,1] neg_hi:[0,1]
	v_pk_add_f32 v[22:23], v[2:3], v[54:55]
	v_pk_add_f32 v[40:41], v[54:55], v[26:27]
	v_pk_add_f32 v[42:43], v[54:55], v[26:27] neg_lo:[0,1] neg_hi:[0,1]
	v_pk_fma_f32 v[0:1], v[28:29], 0.5, v[0:1] op_sel_hi:[1,0,1] neg_lo:[1,0,0] neg_hi:[1,0,0]
	v_pk_mul_f32 v[24:25], v[24:25], s[0:1] op_sel_hi:[1,0]
	v_pk_add_f32 v[22:23], v[22:23], v[26:27]
	v_pk_fma_f32 v[2:3], v[40:41], 0.5, v[2:3] op_sel_hi:[1,0,1] neg_lo:[1,0,0] neg_hi:[1,0,0]
	v_pk_mul_f32 v[26:27], v[42:43], s[0:1] op_sel_hi:[1,0]
	v_pk_add_f32 v[28:29], v[0:1], v[24:25] op_sel:[0,1] op_sel_hi:[1,0]
	v_pk_add_f32 v[0:1], v[0:1], v[24:25] op_sel:[0,1] op_sel_hi:[1,0] neg_lo:[0,1] neg_hi:[0,1]
	v_pk_add_f32 v[24:25], v[2:3], v[26:27] op_sel:[0,1] op_sel_hi:[1,0] neg_lo:[0,1] neg_hi:[0,1]
	v_pk_add_f32 v[2:3], v[2:3], v[26:27] op_sel:[0,1] op_sel_hi:[1,0]
	v_mov_b32_e32 v26, v28
	v_mov_b32_e32 v27, v1
	;; [unrolled: 1-line block ×6, first 2 shown]
	ds_write2_b64 v150, v[20:21], v[26:27] offset1:22
	ds_write_b64 v150, v[0:1] offset:352
	ds_write2_b64 v149, v[22:23], v[28:29] offset1:22
	ds_write_b64 v149, v[24:25] offset:352
	v_mad_legacy_u16 v0, v56, s18, v57
	v_lshlrev_b32_e32 v151, 3, v0
	s_waitcnt vmcnt(0)
	v_pk_mul_f32 v[0:1], v[38:39], v[8:9] op_sel:[0,1]
	s_nop 0
	v_pk_fma_f32 v[2:3], v[38:39], v[8:9], v[0:1] op_sel:[0,0,1] op_sel_hi:[1,1,0] neg_lo:[0,0,1] neg_hi:[0,0,1]
	v_pk_fma_f32 v[0:1], v[38:39], v[8:9], v[0:1] op_sel:[0,0,1] op_sel_hi:[1,0,0]
	s_nop 0
	v_mov_b32_e32 v0, v11
	v_mov_b32_e32 v3, v1
	v_pk_mul_f32 v[0:1], v[36:37], v[0:1] op_sel_hi:[1,0]
	s_nop 0
	v_pk_fma_f32 v[20:21], v[36:37], v[10:11], v[0:1] op_sel:[0,0,1] op_sel_hi:[1,1,0] neg_lo:[0,0,1] neg_hi:[0,0,1]
	v_pk_fma_f32 v[0:1], v[36:37], v[10:11], v[0:1] op_sel:[0,0,1] op_sel_hi:[1,0,0]
	s_nop 0
	v_mov_b32_e32 v21, v1
	v_pk_add_f32 v[0:1], v[2:3], v[20:21]
	v_pk_add_f32 v[22:23], v[2:3], v[20:21] neg_lo:[0,1] neg_hi:[0,1]
	v_pk_fma_f32 v[0:1], v[0:1], 0.5, v[30:31] op_sel_hi:[1,0,1] neg_lo:[1,0,0] neg_hi:[1,0,0]
	v_pk_mul_f32 v[22:23], v[22:23], s[0:1] op_sel_hi:[1,0]
	v_pk_add_f32 v[2:3], v[30:31], v[2:3]
	v_pk_add_f32 v[24:25], v[0:1], v[22:23] op_sel:[0,1] op_sel_hi:[1,0] neg_lo:[0,1] neg_hi:[0,1]
	v_pk_add_f32 v[0:1], v[0:1], v[22:23] op_sel:[0,1] op_sel_hi:[1,0]
	v_pk_add_f32 v[2:3], v[2:3], v[20:21]
	v_mov_b32_e32 v20, v0
	v_mov_b32_e32 v21, v25
	;; [unrolled: 1-line block ×3, first 2 shown]
	ds_write2_b64 v151, v[2:3], v[20:21] offset1:22
	ds_write_b64 v151, v[24:25] offset:352
	s_and_saveexec_b64 s[0:1], s[2:3]
	s_cbranch_execz .LBB0_11
; %bb.10:
	v_mul_u32_u24_e32 v0, 0xba2f, v33
	v_lshrrev_b32_e32 v0, 20, v0
	v_mad_legacy_u16 v0, v0, s18, v142
	v_lshlrev_b32_e32 v2, 3, v0
	v_mov_b32_e32 v0, v48
	v_mov_b32_e32 v1, v47
	ds_write2_b64 v2, v[44:45], v[0:1] offset1:22
	v_mov_b32_e32 v0, v46
	v_mov_b32_e32 v1, v49
	ds_write_b64 v2, v[0:1] offset:352
.LBB0_11:
	s_or_b64 exec, exec, s[0:1]
	v_add_u32_e32 v0, 0x1400, v63
	s_waitcnt lgkmcnt(0)
	s_barrier
	ds_read2_b64 v[40:43], v0 offset0:20 offset1:218
	v_add_u32_e32 v0, 0x2800, v63
	ds_read2_b64 v[28:31], v63 offset1:198
	ds_read2_b64 v[36:39], v0 offset0:40 offset1:238
	ds_read_b64 v[50:51], v63 offset:3168
	ds_read_b64 v[54:55], v63 offset:8448
	;; [unrolled: 1-line block ×3, first 2 shown]
	s_and_saveexec_b64 s[0:1], s[4:5]
	s_xor_b64 s[0:1], exec, s[0:1]
	s_andn2_saveexec_b64 s[0:1], s[0:1]
	s_cbranch_execz .LBB0_13
; %bb.12:
	ds_read_b64 v[0:1], v63 offset:10032
	ds_read_b64 v[46:47], v63 offset:15312
	;; [unrolled: 1-line block ×3, first 2 shown]
	s_waitcnt lgkmcnt(2)
	v_mov_b32_e32 v48, v0
	s_waitcnt lgkmcnt(1)
	v_mov_b32_e32 v49, v47
	v_mov_b32_e32 v47, v1
.LBB0_13:
	s_or_b64 exec, exec, s[0:1]
	s_movk_i32 s0, 0xf9
	v_mul_lo_u16_sdwa v0, v62, s0 dst_sel:DWORD dst_unused:UNUSED_PAD src0_sel:BYTE_0 src1_sel:DWORD
	v_lshrrev_b16_e32 v61, 14, v0
	v_mul_lo_u16_e32 v0, 0x42, v61
	v_sub_u16_e32 v0, v62, v0
	s_mov_b32 s0, 0xf83f
	v_and_b32_e32 v78, 0xff, v0
	v_mul_u32_u24_sdwa v0, v34, s0 dst_sel:DWORD dst_unused:UNUSED_PAD src0_sel:WORD_0 src1_sel:DWORD
	v_lshrrev_b32_e32 v79, 22, v0
	v_mul_lo_u16_e32 v0, 0x42, v79
	v_sub_u16_e32 v80, v34, v0
	v_lshlrev_b16_e32 v56, 4, v80
	v_mov_b32_e32 v57, 0
	v_lshlrev_b32_e32 v2, 4, v78
	v_lshl_add_u64 v[0:1], s[14:15], 0, v[56:57]
	global_load_dwordx4 v[24:27], v2, s[14:15] offset:440
	global_load_dwordx4 v[20:23], v[0:1], off offset:440
	v_mul_u32_u24_sdwa v0, v32, s0 dst_sel:DWORD dst_unused:UNUSED_PAD src0_sel:WORD_0 src1_sel:DWORD
	v_lshrrev_b32_e32 v90, 22, v0
	v_mul_lo_u16_e32 v0, 0x42, v90
	v_sub_u16_e32 v91, v32, v0
	v_mul_u32_u24_e32 v0, 0xf83f, v33
	v_lshrrev_b32_e32 v0, 22, v0
	v_mul_lo_u16_e32 v0, 0x42, v0
	v_lshlrev_b16_e32 v56, 4, v91
	v_sub_u16_e32 v92, v33, v0
	v_lshl_add_u64 v[58:59], s[14:15], 0, v[56:57]
	v_lshlrev_b16_e32 v56, 4, v92
	v_lshl_add_u64 v[76:77], s[14:15], 0, v[56:57]
	global_load_dwordx4 v[0:3], v[76:77], off offset:440
	global_load_dwordx4 v[32:35], v[58:59], off offset:440
	s_movk_i32 s1, 0xc6
	v_mul_u32_u24_e32 v56, 0xc6, v61
	v_mad_legacy_u16 v58, v79, s1, v80
	v_add_lshl_u32 v153, v56, v78, 3
	v_lshlrev_b32_e32 v152, 3, v58
	s_mov_b32 s0, 0x3f5db3d7
	s_waitcnt lgkmcnt(0)
	s_barrier
	v_lshlrev_b32_e32 v154, 3, v92
	s_waitcnt vmcnt(3)
	v_pk_mul_f32 v[58:59], v[40:41], v[24:25] op_sel:[0,1]
	v_mov_b32_e32 v56, v27
	s_waitcnt vmcnt(2)
	v_pk_mul_f32 v[76:77], v[42:43], v[20:21] op_sel:[0,1]
	v_mov_b32_e32 v78, v23
	v_pk_fma_f32 v[80:81], v[40:41], v[24:25], v[58:59] op_sel:[0,0,1] op_sel_hi:[1,1,0] neg_lo:[0,0,1] neg_hi:[0,0,1]
	v_pk_fma_f32 v[40:41], v[40:41], v[24:25], v[58:59] op_sel:[0,0,1] op_sel_hi:[1,0,0]
	v_pk_mul_f32 v[58:59], v[36:37], v[56:57] op_sel_hi:[1,0]
	v_pk_fma_f32 v[82:83], v[42:43], v[20:21], v[76:77] op_sel:[0,0,1] op_sel_hi:[1,1,0] neg_lo:[0,0,1] neg_hi:[0,0,1]
	v_pk_fma_f32 v[42:43], v[42:43], v[20:21], v[76:77] op_sel:[0,0,1] op_sel_hi:[1,0,0]
	v_pk_mul_f32 v[76:77], v[38:39], v[78:79] op_sel_hi:[1,0]
	v_mov_b32_e32 v81, v41
	v_pk_fma_f32 v[40:41], v[36:37], v[26:27], v[58:59] op_sel:[0,0,1] op_sel_hi:[1,1,0] neg_lo:[0,0,1] neg_hi:[0,0,1]
	v_pk_fma_f32 v[58:59], v[36:37], v[26:27], v[58:59] op_sel:[0,0,1] op_sel_hi:[1,0,0]
	s_waitcnt vmcnt(1)
	v_pk_mul_f32 v[78:79], v[46:47], v[0:1] op_sel:[1,0]
	v_pk_mul_f32 v[84:85], v[48:49], v[2:3] op_sel:[1,0]
	v_mov_b32_e32 v83, v43
	v_pk_fma_f32 v[42:43], v[38:39], v[22:23], v[76:77] op_sel:[0,0,1] op_sel_hi:[1,1,0] neg_lo:[0,0,1] neg_hi:[0,0,1]
	v_pk_fma_f32 v[76:77], v[38:39], v[22:23], v[76:77] op_sel:[0,0,1] op_sel_hi:[1,0,0]
	v_pk_fma_f32 v[86:87], v[48:49], v[0:1], v[78:79] op_sel:[0,0,1] op_sel_hi:[0,1,0]
	v_pk_fma_f32 v[36:37], v[48:49], v[0:1], v[78:79] op_sel:[0,0,1] op_sel_hi:[0,1,0] neg_lo:[0,0,1] neg_hi:[0,0,1]
	v_pk_fma_f32 v[48:49], v[46:47], v[2:3], v[84:85] op_sel:[0,0,1] op_sel_hi:[0,1,0]
	v_pk_fma_f32 v[38:39], v[46:47], v[2:3], v[84:85] op_sel:[0,0,1] op_sel_hi:[0,1,0] neg_lo:[0,0,1] neg_hi:[0,0,1]
	v_mov_b32_e32 v41, v59
	v_pk_add_f32 v[46:47], v[28:29], v[80:81]
	v_mov_b32_e32 v43, v77
	v_pk_add_f32 v[58:59], v[30:31], v[82:83]
	v_mov_b32_e32 v37, v87
	v_mov_b32_e32 v39, v49
	v_pk_add_f32 v[46:47], v[46:47], v[40:41]
	v_pk_add_f32 v[48:49], v[80:81], v[40:41]
	v_pk_add_f32 v[40:41], v[80:81], v[40:41] neg_lo:[0,1] neg_hi:[0,1]
	v_pk_add_f32 v[76:77], v[82:83], v[42:43]
	v_pk_add_f32 v[78:79], v[82:83], v[42:43] neg_lo:[0,1] neg_hi:[0,1]
	v_pk_add_f32 v[42:43], v[58:59], v[42:43]
	v_pk_add_f32 v[58:59], v[36:37], v[38:39]
	v_pk_add_f32 v[80:81], v[36:37], v[38:39] neg_lo:[0,1] neg_hi:[0,1]
	v_pk_fma_f32 v[28:29], v[48:49], 0.5, v[28:29] op_sel_hi:[1,0,1] neg_lo:[1,0,0] neg_hi:[1,0,0]
	v_pk_mul_f32 v[40:41], v[40:41], s[0:1] op_sel_hi:[1,0]
	v_pk_fma_f32 v[30:31], v[76:77], 0.5, v[30:31] op_sel_hi:[1,0,1] neg_lo:[1,0,0] neg_hi:[1,0,0]
	v_pk_mul_f32 v[48:49], v[78:79], s[0:1] op_sel_hi:[1,0]
	;; [unrolled: 2-line block ×3, first 2 shown]
	v_pk_add_f32 v[78:79], v[28:29], v[40:41] op_sel:[0,1] op_sel_hi:[1,0]
	v_pk_add_f32 v[28:29], v[28:29], v[40:41] op_sel:[0,1] op_sel_hi:[1,0] neg_lo:[0,1] neg_hi:[0,1]
	v_pk_add_f32 v[40:41], v[30:31], v[48:49] op_sel:[0,1] op_sel_hi:[1,0] neg_lo:[0,1] neg_hi:[0,1]
	v_pk_add_f32 v[30:31], v[30:31], v[48:49] op_sel:[0,1] op_sel_hi:[1,0]
	v_pk_add_f32 v[48:49], v[58:59], v[76:77] op_sel:[0,1] op_sel_hi:[1,0]
	v_pk_add_f32 v[86:87], v[58:59], v[76:77] op_sel:[0,1] op_sel_hi:[1,0] neg_lo:[0,1] neg_hi:[0,1]
	v_mov_b32_e32 v58, v78
	v_mov_b32_e32 v59, v29
	;; [unrolled: 1-line block ×3, first 2 shown]
	ds_write2_b64 v153, v[46:47], v[58:59] offset1:66
	ds_write_b64 v153, v[28:29] offset:1056
	v_mov_b32_e32 v28, v30
	v_mov_b32_e32 v29, v41
	ds_write2_b64 v152, v[42:43], v[28:29] offset1:66
	v_mad_legacy_u16 v28, v90, s1, v91
	v_lshlrev_b32_e32 v155, 3, v28
	s_waitcnt vmcnt(0)
	v_pk_mul_f32 v[28:29], v[54:55], v[32:33] op_sel:[0,1]
	v_mov_b32_e32 v41, v31
	v_pk_fma_f32 v[30:31], v[54:55], v[32:33], v[28:29] op_sel:[0,0,1] op_sel_hi:[1,1,0] neg_lo:[0,0,1] neg_hi:[0,0,1]
	v_pk_fma_f32 v[28:29], v[54:55], v[32:33], v[28:29] op_sel:[0,0,1] op_sel_hi:[1,0,0]
	ds_write_b64 v152, v[40:41] offset:1056
	v_mov_b32_e32 v28, v35
	v_mov_b32_e32 v31, v29
	v_pk_mul_f32 v[28:29], v[52:53], v[28:29] op_sel_hi:[1,0]
	v_mov_b32_e32 v88, v48
	v_pk_fma_f32 v[40:41], v[52:53], v[34:35], v[28:29] op_sel:[0,0,1] op_sel_hi:[1,1,0] neg_lo:[0,0,1] neg_hi:[0,0,1]
	v_pk_fma_f32 v[28:29], v[52:53], v[34:35], v[28:29] op_sel:[0,0,1] op_sel_hi:[1,0,0]
	v_mov_b32_e32 v89, v87
	v_mov_b32_e32 v41, v29
	v_pk_add_f32 v[28:29], v[30:31], v[40:41]
	v_pk_add_f32 v[42:43], v[30:31], v[40:41] neg_lo:[0,1] neg_hi:[0,1]
	v_pk_fma_f32 v[28:29], v[28:29], 0.5, v[50:51] op_sel_hi:[1,0,1] neg_lo:[1,0,0] neg_hi:[1,0,0]
	v_pk_mul_f32 v[42:43], v[42:43], s[0:1] op_sel_hi:[1,0]
	v_pk_add_f32 v[30:31], v[50:51], v[30:31]
	v_pk_add_f32 v[46:47], v[28:29], v[42:43] op_sel:[0,1] op_sel_hi:[1,0] neg_lo:[0,1] neg_hi:[0,1]
	v_pk_add_f32 v[28:29], v[28:29], v[42:43] op_sel:[0,1] op_sel_hi:[1,0]
	v_mov_b32_e32 v87, v49
	v_pk_add_f32 v[30:31], v[30:31], v[40:41]
	v_mov_b32_e32 v40, v28
	v_mov_b32_e32 v41, v47
	v_mov_b32_e32 v47, v29
	ds_write2_b64 v155, v[30:31], v[40:41] offset1:66
	ds_write_b64 v155, v[46:47] offset:1056
	s_and_saveexec_b64 s[0:1], s[2:3]
	s_cbranch_execz .LBB0_15
; %bb.14:
	v_pk_add_f32 v[28:29], v[44:45], v[36:37]
	v_add_u32_e32 v30, 0x3400, v154
	v_pk_add_f32 v[28:29], v[28:29], v[38:39]
	ds_write2_b64 v30, v[28:29], v[88:89] offset0:118 offset1:184
	ds_write_b64 v154, v[86:87] offset:15312
.LBB0_15:
	s_or_b64 exec, exec, s[0:1]
	v_lshlrev_b32_e32 v56, 5, v62
	s_waitcnt lgkmcnt(0)
	s_barrier
	global_load_dwordx4 v[28:31], v56, s[14:15] offset:1512
	global_load_dwordx4 v[36:39], v56, s[14:15] offset:1496
	v_add_u32_e32 v61, 0xc00, v63
	ds_read2_b64 v[46:49], v61 offset0:12 offset1:210
	v_add_u32_e32 v110, 0x1800, v63
	ds_read2_b64 v[50:53], v110 offset0:24 offset1:222
	v_add_u32_e32 v111, 0x2400, v63
	v_lshl_add_u64 v[44:45], s[14:15], 0, v[56:57]
	ds_read2_b64 v[54:57], v111 offset0:36 offset1:234
	v_add_u32_e32 v112, 0x3000, v63
	ds_read2_b64 v[76:79], v112 offset0:48 offset1:246
	ds_read2_b64 v[40:43], v63 offset1:198
	s_movk_i32 s1, 0x3000
	s_mov_b32 s0, 0x3f737871
	s_mov_b32 s14, 0x3f167918
	;; [unrolled: 1-line block ×3, first 2 shown]
	s_waitcnt lgkmcnt(0)
	s_barrier
	s_waitcnt vmcnt(0)
	v_pk_mul_f32 v[58:59], v[48:49], v[36:37] op_sel:[0,1]
	s_nop 0
	v_pk_fma_f32 v[80:81], v[48:49], v[36:37], v[58:59] op_sel:[0,0,1] op_sel_hi:[1,1,0] neg_lo:[0,0,1] neg_hi:[0,0,1]
	v_pk_fma_f32 v[48:49], v[48:49], v[36:37], v[58:59] op_sel:[0,0,1] op_sel_hi:[1,0,0]
	v_pk_mul_f32 v[98:99], v[46:47], v[36:37] op_sel:[0,1]
	v_mov_b32_e32 v48, v39
	v_pk_mul_f32 v[58:59], v[52:53], v[48:49] op_sel_hi:[1,0]
	v_pk_fma_f32 v[100:101], v[46:47], v[36:37], v[98:99] op_sel:[0,0,1] op_sel_hi:[1,1,0] neg_lo:[0,0,1] neg_hi:[0,0,1]
	v_pk_fma_f32 v[46:47], v[46:47], v[36:37], v[98:99] op_sel:[0,0,1] op_sel_hi:[1,0,0]
	v_pk_fma_f32 v[82:83], v[52:53], v[38:39], v[58:59] op_sel:[0,0,1] op_sel_hi:[1,1,0] neg_lo:[0,0,1] neg_hi:[0,0,1]
	v_pk_fma_f32 v[52:53], v[52:53], v[38:39], v[58:59] op_sel:[0,0,1] op_sel_hi:[1,0,0]
	v_mov_b32_e32 v101, v47
	v_pk_mul_f32 v[46:47], v[50:51], v[48:49] op_sel_hi:[1,0]
	v_mov_b32_e32 v81, v49
	v_mov_b32_e32 v83, v53
	v_pk_mul_f32 v[52:53], v[56:57], v[28:29] op_sel:[0,1]
	v_pk_fma_f32 v[48:49], v[50:51], v[38:39], v[46:47] op_sel:[0,0,1] op_sel_hi:[1,1,0] neg_lo:[0,0,1] neg_hi:[0,0,1]
	v_pk_fma_f32 v[46:47], v[50:51], v[38:39], v[46:47] op_sel:[0,0,1] op_sel_hi:[1,0,0]
	v_pk_fma_f32 v[58:59], v[56:57], v[28:29], v[52:53] op_sel:[0,0,1] op_sel_hi:[1,1,0] neg_lo:[0,0,1] neg_hi:[0,0,1]
	v_pk_fma_f32 v[52:53], v[56:57], v[28:29], v[52:53] op_sel:[0,0,1] op_sel_hi:[1,0,0]
	v_mov_b32_e32 v49, v47
	v_pk_mul_f32 v[46:47], v[54:55], v[28:29] op_sel:[0,1]
	v_mov_b32_e32 v52, v31
	v_pk_fma_f32 v[50:51], v[54:55], v[28:29], v[46:47] op_sel:[0,0,1] op_sel_hi:[1,1,0] neg_lo:[0,0,1] neg_hi:[0,0,1]
	v_pk_fma_f32 v[46:47], v[54:55], v[28:29], v[46:47] op_sel:[0,0,1] op_sel_hi:[1,0,0]
	v_mov_b32_e32 v59, v53
	v_mov_b32_e32 v51, v47
	v_pk_mul_f32 v[46:47], v[76:77], v[52:53] op_sel_hi:[1,0]
	v_pk_mul_f32 v[56:57], v[78:79], v[52:53] op_sel_hi:[1,0]
	v_pk_fma_f32 v[52:53], v[76:77], v[30:31], v[46:47] op_sel:[0,0,1] op_sel_hi:[1,1,0] neg_lo:[0,0,1] neg_hi:[0,0,1]
	v_pk_fma_f32 v[46:47], v[76:77], v[30:31], v[46:47] op_sel:[0,0,1] op_sel_hi:[1,0,0]
	v_pk_add_f32 v[54:55], v[48:49], v[50:51]
	v_mov_b32_e32 v53, v47
	v_pk_add_f32 v[76:77], v[100:101], v[52:53] neg_lo:[0,1] neg_hi:[0,1]
	v_pk_fma_f32 v[54:55], v[54:55], 0.5, v[40:41] op_sel_hi:[1,0,1] neg_lo:[1,0,0] neg_hi:[1,0,0]
	v_pk_mul_f32 v[98:99], v[76:77], s[0:1] op_sel_hi:[1,0]
	v_pk_add_f32 v[102:103], v[48:49], v[50:51] neg_lo:[0,1] neg_hi:[0,1]
	v_pk_add_f32 v[106:107], v[100:101], v[48:49] neg_lo:[0,1] neg_hi:[0,1]
	v_pk_add_f32 v[108:109], v[52:53], v[50:51] neg_lo:[0,1] neg_hi:[0,1]
	v_pk_add_f32 v[46:47], v[40:41], v[100:101]
	v_pk_mul_f32 v[104:105], v[102:103], s[14:15] op_sel_hi:[1,0]
	v_pk_add_f32 v[106:107], v[106:107], v[108:109]
	v_pk_add_f32 v[108:109], v[54:55], v[98:99] op_sel:[0,1] op_sel_hi:[1,0]
	v_pk_add_f32 v[54:55], v[54:55], v[98:99] op_sel:[0,1] op_sel_hi:[1,0] neg_lo:[0,1] neg_hi:[0,1]
	v_pk_add_f32 v[46:47], v[46:47], v[48:49]
	v_pk_add_f32 v[54:55], v[54:55], v[104:105] op_sel:[0,1] op_sel_hi:[1,0] neg_lo:[0,1] neg_hi:[0,1]
	v_pk_add_f32 v[98:99], v[108:109], v[104:105] op_sel:[0,1] op_sel_hi:[1,0]
	v_pk_add_f32 v[46:47], v[46:47], v[50:51]
	v_mov_b32_e32 v104, v98
	v_mov_b32_e32 v105, v55
	v_pk_add_f32 v[46:47], v[46:47], v[52:53]
	v_pk_fma_f32 v[104:105], v[106:107], s[18:19], v[104:105] op_sel_hi:[1,0,1]
	ds_write2_b64 v63, v[46:47], v[104:105] offset1:198
	v_pk_add_f32 v[46:47], v[100:101], v[52:53]
	v_pk_fma_f32 v[84:85], v[78:79], v[30:31], v[56:57] op_sel:[0,0,1] op_sel_hi:[1,1,0] neg_lo:[0,0,1] neg_hi:[0,0,1]
	v_pk_fma_f32 v[40:41], v[46:47], 0.5, v[40:41] op_sel_hi:[1,0,1] neg_lo:[1,0,0] neg_hi:[1,0,0]
	v_pk_add_f32 v[46:47], v[48:49], v[100:101] neg_lo:[0,1] neg_hi:[0,1]
	v_pk_add_f32 v[48:49], v[50:51], v[52:53] neg_lo:[0,1] neg_hi:[0,1]
	v_pk_mul_f32 v[50:51], v[76:77], s[14:15] op_sel_hi:[1,0]
	v_pk_add_f32 v[46:47], v[46:47], v[48:49]
	v_pk_mul_f32 v[48:49], v[102:103], s[0:1] op_sel_hi:[1,0]
	v_pk_fma_f32 v[56:57], v[78:79], v[30:31], v[56:57] op_sel:[0,0,1] op_sel_hi:[1,0,0]
	v_pk_add_f32 v[52:53], v[40:41], v[48:49] op_sel:[0,1] op_sel_hi:[1,0] neg_lo:[0,1] neg_hi:[0,1]
	v_pk_add_f32 v[40:41], v[40:41], v[48:49] op_sel:[0,1] op_sel_hi:[1,0]
	v_pk_add_f32 v[48:49], v[52:53], v[50:51] op_sel:[0,1] op_sel_hi:[1,0]
	v_pk_add_f32 v[40:41], v[40:41], v[50:51] op_sel:[0,1] op_sel_hi:[1,0] neg_lo:[0,1] neg_hi:[0,1]
	v_mov_b32_e32 v50, v48
	v_mov_b32_e32 v51, v41
	;; [unrolled: 1-line block ×3, first 2 shown]
	v_pk_fma_f32 v[50:51], v[46:47], s[18:19], v[50:51] op_sel_hi:[1,0,1]
	v_pk_fma_f32 v[40:41], v[46:47], s[18:19], v[40:41] op_sel_hi:[1,0,1]
	v_pk_add_f32 v[46:47], v[42:43], v[80:81]
	v_mov_b32_e32 v85, v57
	v_pk_add_f32 v[46:47], v[46:47], v[82:83]
	v_mov_b32_e32 v55, v99
	v_pk_add_f32 v[46:47], v[46:47], v[58:59]
	ds_write2_b64 v61, v[50:51], v[40:41] offset0:12 offset1:210
	v_pk_fma_f32 v[40:41], v[106:107], s[18:19], v[54:55] op_sel_hi:[1,0,1]
	v_pk_add_f32 v[46:47], v[46:47], v[84:85]
	v_pk_add_f32 v[56:57], v[82:83], v[58:59]
	ds_write2_b64 v110, v[40:41], v[46:47] offset0:24 offset1:222
	v_pk_add_f32 v[46:47], v[80:81], v[84:85]
	v_pk_fma_f32 v[56:57], v[56:57], 0.5, v[42:43] op_sel_hi:[1,0,1] neg_lo:[1,0,0] neg_hi:[1,0,0]
	v_pk_add_f32 v[78:79], v[80:81], v[84:85] neg_lo:[0,1] neg_hi:[0,1]
	v_pk_add_f32 v[90:91], v[82:83], v[58:59] neg_lo:[0,1] neg_hi:[0,1]
	v_pk_add_f32 v[92:93], v[80:81], v[82:83] neg_lo:[0,1] neg_hi:[0,1]
	v_pk_add_f32 v[94:95], v[84:85], v[58:59] neg_lo:[0,1] neg_hi:[0,1]
	v_pk_fma_f32 v[42:43], v[46:47], 0.5, v[42:43] op_sel_hi:[1,0,1] neg_lo:[1,0,0] neg_hi:[1,0,0]
	v_pk_add_f32 v[46:47], v[82:83], v[80:81] neg_lo:[0,1] neg_hi:[0,1]
	v_pk_add_f32 v[48:49], v[58:59], v[84:85] neg_lo:[0,1] neg_hi:[0,1]
	v_pk_add_f32 v[92:93], v[92:93], v[94:95]
	v_pk_fma_f32 v[94:95], v[78:79], s[0:1], v[56:57] op_sel:[1,0,0] op_sel_hi:[0,0,1] neg_lo:[1,0,0] neg_hi:[1,0,0]
	v_pk_fma_f32 v[56:57], v[78:79], s[0:1], v[56:57] op_sel:[1,0,0] op_sel_hi:[0,0,1]
	v_pk_add_f32 v[46:47], v[46:47], v[48:49]
	v_pk_fma_f32 v[48:49], v[90:91], s[0:1], v[42:43] op_sel:[1,0,0] op_sel_hi:[0,0,1]
	v_pk_fma_f32 v[42:43], v[90:91], s[0:1], v[42:43] op_sel:[1,0,0] op_sel_hi:[0,0,1] neg_lo:[1,0,0] neg_hi:[1,0,0]
	v_pk_fma_f32 v[56:57], v[90:91], s[14:15], v[56:57] op_sel:[1,0,0] op_sel_hi:[0,0,1]
	v_pk_fma_f32 v[94:95], v[90:91], s[14:15], v[94:95] op_sel:[1,0,0] op_sel_hi:[0,0,1] neg_lo:[1,0,0] neg_hi:[1,0,0]
	;; [unrolled: 2-line block ×3, first 2 shown]
	v_mov_b32_e32 v97, v57
	v_mov_b32_e32 v57, v95
	;; [unrolled: 1-line block ×5, first 2 shown]
	v_pk_fma_f32 v[40:41], v[92:93], s[18:19], v[56:57] op_sel_hi:[1,0,1]
	v_mov_b32_e32 v50, v48
	v_pk_fma_f32 v[42:43], v[46:47], s[18:19], v[42:43] op_sel_hi:[1,0,1]
	v_pk_fma_f32 v[96:97], v[92:93], s[18:19], v[96:97] op_sel_hi:[1,0,1]
	;; [unrolled: 1-line block ×3, first 2 shown]
	ds_write2_b64 v111, v[40:41], v[42:43] offset0:36 offset1:234
	ds_write2_b64 v112, v[50:51], v[96:97] offset0:48 offset1:246
	v_mul_hi_i32_i24_e32 v41, 0xffffffe8, v62
	v_mul_i32_i24_e32 v40, 0xffffffe8, v62
	v_lshl_add_u64 v[40:41], v[44:45], 0, v[40:41]
	s_movk_i32 s0, 0x1000
	v_add_co_u32_e32 v42, vcc, s0, v40
	s_movk_i32 s0, 0x2000
	s_nop 0
	v_addc_co_u32_e32 v43, vcc, 0, v41, vcc
	v_add_co_u32_e32 v46, vcc, s0, v40
	s_waitcnt lgkmcnt(0)
	s_nop 0
	v_addc_co_u32_e32 v47, vcc, 0, v41, vcc
	s_barrier
	global_load_dwordx2 v[80:81], v[42:43], off offset:3736
	global_load_dwordx2 v[78:79], v[46:47], off offset:1224
	;; [unrolled: 1-line block ×3, first 2 shown]
	v_add_co_u32_e32 v40, vcc, s1, v40
	ds_read2_b64 v[42:45], v111 offset0:36 offset1:234
	s_nop 0
	v_addc_co_u32_e32 v41, vcc, 0, v41, vcc
	global_load_dwordx2 v[82:83], v[40:41], off offset:296
	global_load_dwordx2 v[76:77], v[40:41], off offset:1880
	s_waitcnt vmcnt(3)
	v_mov_b32_e32 v48, v79
	s_waitcnt lgkmcnt(0)
	v_pk_mul_f32 v[48:49], v[42:43], v[48:49] op_sel:[1,0] op_sel_hi:[0,1]
	v_pk_fma_f32 v[54:55], v[42:43], v[78:79], v[48:49] neg_lo:[0,0,1] neg_hi:[0,0,1]
	v_pk_mul_f32 v[48:49], v[42:43], v[78:79] op_sel:[1,0] op_sel_hi:[0,1]
	v_mov_b32_e32 v49, v48
	v_pk_fma_f32 v[94:95], v[42:43], v[78:79], v[48:49] op_sel:[1,0,0] op_sel_hi:[0,1,1]
	ds_read2_b64 v[46:49], v63 offset1:198
	ds_read2_b64 v[56:59], v110 offset0:24 offset1:222
	ds_read2_b64 v[90:93], v61 offset0:12 offset1:210
	;; [unrolled: 1-line block ×3, first 2 shown]
	v_mov_b32_e32 v55, v95
	s_waitcnt lgkmcnt(2)
	v_pk_mul_f32 v[40:41], v[58:59], v[80:81] op_sel:[0,1]
	s_nop 0
	v_pk_fma_f32 v[42:43], v[58:59], v[80:81], v[40:41] op_sel:[0,0,1] op_sel_hi:[1,1,0] neg_lo:[0,0,1] neg_hi:[0,0,1]
	v_pk_fma_f32 v[40:41], v[58:59], v[80:81], v[40:41] op_sel:[0,0,1] op_sel_hi:[1,0,0]
	s_nop 0
	v_mov_b32_e32 v43, v41
	v_pk_add_f32 v[42:43], v[46:47], v[42:43] neg_lo:[0,1] neg_hi:[0,1]
	s_nop 0
	v_pk_fma_f32 v[40:41], v[46:47], 2.0, v[42:43] op_sel_hi:[1,0,1] neg_lo:[0,0,1] neg_hi:[0,0,1]
	s_waitcnt vmcnt(2)
	v_pk_mul_f32 v[46:47], v[44:45], v[84:85] op_sel:[0,1]
	s_nop 0
	v_pk_fma_f32 v[58:59], v[44:45], v[84:85], v[46:47] op_sel:[0,0,1] op_sel_hi:[1,1,0] neg_lo:[0,0,1] neg_hi:[0,0,1]
	v_pk_fma_f32 v[44:45], v[44:45], v[84:85], v[46:47] op_sel:[0,0,1] op_sel_hi:[1,0,0]
	v_pk_add_f32 v[46:47], v[48:49], v[54:55] neg_lo:[0,1] neg_hi:[0,1]
	v_mov_b32_e32 v59, v45
	s_waitcnt vmcnt(1) lgkmcnt(0)
	v_pk_mul_f32 v[44:45], v[50:51], v[82:83] op_sel:[0,1]
	s_nop 0
	v_pk_fma_f32 v[96:97], v[50:51], v[82:83], v[44:45] op_sel:[0,0,1] op_sel_hi:[1,1,0] neg_lo:[0,0,1] neg_hi:[0,0,1]
	v_pk_fma_f32 v[44:45], v[50:51], v[82:83], v[44:45] op_sel:[0,0,1] op_sel_hi:[1,0,0]
	v_pk_add_f32 v[50:51], v[90:91], v[58:59] neg_lo:[0,1] neg_hi:[0,1]
	v_mov_b32_e32 v97, v45
	s_waitcnt vmcnt(0)
	v_pk_mul_f32 v[44:45], v[52:53], v[76:77] op_sel:[0,1]
	v_pk_add_f32 v[54:55], v[92:93], v[96:97] neg_lo:[0,1] neg_hi:[0,1]
	v_pk_fma_f32 v[98:99], v[52:53], v[76:77], v[44:45] op_sel:[0,0,1] op_sel_hi:[1,1,0] neg_lo:[0,0,1] neg_hi:[0,0,1]
	v_pk_fma_f32 v[44:45], v[52:53], v[76:77], v[44:45] op_sel:[0,0,1] op_sel_hi:[1,0,0]
	v_pk_fma_f32 v[52:53], v[92:93], 2.0, v[54:55] op_sel_hi:[1,0,1] neg_lo:[0,0,1] neg_hi:[0,0,1]
	v_mov_b32_e32 v99, v45
	v_pk_add_f32 v[58:59], v[56:57], v[98:99] neg_lo:[0,1] neg_hi:[0,1]
	v_pk_fma_f32 v[44:45], v[48:49], 2.0, v[46:47] op_sel_hi:[1,0,1] neg_lo:[0,0,1] neg_hi:[0,0,1]
	v_pk_fma_f32 v[48:49], v[90:91], 2.0, v[50:51] op_sel_hi:[1,0,1] neg_lo:[0,0,1] neg_hi:[0,0,1]
	;; [unrolled: 1-line block ×3, first 2 shown]
	ds_write2_b64 v63, v[40:41], v[44:45] offset1:198
	ds_write2_b64 v111, v[46:47], v[50:51] offset0:36 offset1:234
	ds_write2_b64 v61, v[48:49], v[52:53] offset0:12 offset1:210
	;; [unrolled: 1-line block ×4, first 2 shown]
	s_waitcnt lgkmcnt(0)
	s_barrier
	s_and_saveexec_b64 s[0:1], s[6:7]
	s_cbranch_execz .LBB0_17
; %bb.16:
	v_mov_b32_e32 v61, 0
	v_lshl_add_u64 v[94:95], s[16:17], 0, v[60:61]
	v_add_co_u32_e32 v92, vcc, 0x3000, v94
	ds_read_b64 v[90:91], v63
	s_nop 0
	v_addc_co_u32_e32 v93, vcc, 0, v95, vcc
	global_load_dwordx2 v[92:93], v[92:93], off offset:3552
	s_mov_b64 s[14:15], 0x3de0
	v_lshl_add_u64 v[96:97], v[94:95], 0, s[14:15]
	s_movk_i32 s14, 0x4000
	s_waitcnt vmcnt(0) lgkmcnt(0)
	v_mul_f32_e32 v61, v91, v93
	v_mul_f32_e32 v99, v90, v93
	v_fma_f32 v98, v90, v92, -v61
	v_fmac_f32_e32 v99, v91, v92
	ds_write_b64 v63, v[98:99]
	global_load_dwordx2 v[98:99], v[96:97], off offset:1440
	v_add_u32_e32 v61, 0x400, v60
	ds_read2_b64 v[90:93], v61 offset0:52 offset1:232
	s_waitcnt vmcnt(0) lgkmcnt(0)
	v_mul_f32_e32 v100, v91, v99
	v_mul_f32_e32 v101, v90, v99
	v_fma_f32 v100, v90, v98, -v100
	v_fmac_f32_e32 v101, v91, v98
	global_load_dwordx2 v[90:91], v[96:97], off offset:2880
	s_waitcnt vmcnt(0)
	v_mul_f32_e32 v96, v93, v91
	v_mul_f32_e32 v97, v92, v91
	v_fma_f32 v96, v92, v90, -v96
	v_fmac_f32_e32 v97, v93, v90
	ds_write2_b64 v61, v[100:101], v[96:97] offset0:52 offset1:232
	v_add_co_u32_e32 v96, vcc, s14, v94
	v_add_u32_e32 v61, 0x1000, v60
	s_nop 0
	v_addc_co_u32_e32 v97, vcc, 0, v95, vcc
	global_load_dwordx2 v[96:97], v[96:97], off offset:3776
	ds_read2_b64 v[90:93], v61 offset0:28 offset1:208
	s_movk_i32 s14, 0x5000
	s_waitcnt vmcnt(0) lgkmcnt(0)
	v_mul_f32_e32 v98, v91, v97
	v_mul_f32_e32 v99, v90, v97
	v_fma_f32 v98, v90, v96, -v98
	v_fmac_f32_e32 v99, v91, v96
	v_add_co_u32_e32 v96, vcc, s14, v94
	s_movk_i32 s14, 0x6000
	s_nop 0
	v_addc_co_u32_e32 v97, vcc, 0, v95, vcc
	global_load_dwordx2 v[90:91], v[96:97], off offset:1120
	s_waitcnt vmcnt(0)
	v_mul_f32_e32 v100, v93, v91
	v_mul_f32_e32 v101, v92, v91
	v_fma_f32 v100, v92, v90, -v100
	v_fmac_f32_e32 v101, v93, v90
	ds_write2_b64 v61, v[98:99], v[100:101] offset0:28 offset1:208
	global_load_dwordx2 v[98:99], v[96:97], off offset:2560
	v_add_u32_e32 v61, 0x1c00, v60
	ds_read2_b64 v[90:93], v61 offset0:4 offset1:184
	s_waitcnt vmcnt(0) lgkmcnt(0)
	v_mul_f32_e32 v100, v91, v99
	v_mul_f32_e32 v101, v90, v99
	v_fma_f32 v100, v90, v98, -v100
	v_fmac_f32_e32 v101, v91, v98
	global_load_dwordx2 v[90:91], v[96:97], off offset:4000
	s_waitcnt vmcnt(0)
	v_mul_f32_e32 v96, v93, v91
	v_mul_f32_e32 v97, v92, v91
	v_fma_f32 v96, v92, v90, -v96
	v_fmac_f32_e32 v97, v93, v90
	ds_write2_b64 v61, v[100:101], v[96:97] offset0:4 offset1:184
	v_add_co_u32_e32 v96, vcc, s14, v94
	v_add_u32_e32 v61, 0x2600, v60
	s_nop 0
	v_addc_co_u32_e32 v97, vcc, 0, v95, vcc
	global_load_dwordx2 v[98:99], v[96:97], off offset:1344
	ds_read2_b64 v[90:93], v61 offset0:44 offset1:224
	s_movk_i32 s14, 0x7000
	v_add_co_u32_e32 v94, vcc, s14, v94
	s_waitcnt vmcnt(0) lgkmcnt(0)
	v_mul_f32_e32 v100, v91, v99
	v_mul_f32_e32 v101, v90, v99
	v_fma_f32 v100, v90, v98, -v100
	v_fmac_f32_e32 v101, v91, v98
	global_load_dwordx2 v[90:91], v[96:97], off offset:2784
	v_addc_co_u32_e32 v95, vcc, 0, v95, vcc
	s_waitcnt vmcnt(0)
	v_mul_f32_e32 v96, v93, v91
	v_mul_f32_e32 v97, v92, v91
	v_fma_f32 v96, v92, v90, -v96
	v_fmac_f32_e32 v97, v93, v90
	ds_write2_b64 v61, v[100:101], v[96:97] offset0:44 offset1:224
	global_load_dwordx2 v[96:97], v[94:95], off offset:128
	v_add_u32_e32 v61, 0x3200, v60
	ds_read2_b64 v[90:93], v61 offset0:20 offset1:200
	s_waitcnt vmcnt(0) lgkmcnt(0)
	v_mul_f32_e32 v98, v91, v97
	v_mul_f32_e32 v99, v90, v97
	v_fma_f32 v98, v90, v96, -v98
	v_fmac_f32_e32 v99, v91, v96
	global_load_dwordx2 v[90:91], v[94:95], off offset:1568
	s_waitcnt vmcnt(0)
	v_mul_f32_e32 v94, v93, v91
	v_mul_f32_e32 v95, v92, v91
	v_fma_f32 v94, v92, v90, -v94
	v_fmac_f32_e32 v95, v93, v90
	ds_write2_b64 v61, v[98:99], v[94:95] offset0:20 offset1:200
.LBB0_17:
	s_or_b64 exec, exec, s[0:1]
	s_waitcnt lgkmcnt(0)
	s_barrier
	s_and_saveexec_b64 s[0:1], s[6:7]
	s_cbranch_execz .LBB0_19
; %bb.18:
	v_add_u32_e32 v44, 0xa00, v63
	v_add_u32_e32 v48, 0x1600, v63
	;; [unrolled: 1-line block ×4, first 2 shown]
	ds_read2_b64 v[40:43], v63 offset1:180
	ds_read2_b64 v[44:47], v44 offset0:40 offset1:220
	ds_read2_b64 v[48:51], v48 offset0:16 offset1:196
	;; [unrolled: 1-line block ×4, first 2 shown]
	ds_read_b64 v[88:89], v63 offset:14400
.LBB0_19:
	s_or_b64 exec, exec, s[0:1]
	s_waitcnt lgkmcnt(0)
	v_pk_add_f32 v[100:101], v[42:43], v[88:89] neg_lo:[0,1] neg_hi:[0,1]
	v_pk_add_f32 v[112:113], v[42:43], v[88:89]
	v_mov_b32_e32 v103, v100
	v_mov_b32_e32 v102, v112
	v_mov_b32_e32 v112, v101
	v_pk_add_f32 v[100:101], v[44:45], v[58:59] neg_lo:[0,1] neg_hi:[0,1]
	v_pk_add_f32 v[114:115], v[44:45], v[58:59]
	v_mov_b32_e32 v105, v100
	v_mov_b32_e32 v104, v114
	;; [unrolled: 1-line block ×3, first 2 shown]
	v_pk_add_f32 v[100:101], v[46:47], v[56:57] neg_lo:[0,1] neg_hi:[0,1]
	v_pk_add_f32 v[116:117], v[46:47], v[56:57]
	s_mov_b32 s30, 0xbf0a6770
	v_mov_b32_e32 v106, v116
	v_mov_b32_e32 v107, v100
	;; [unrolled: 1-line block ×3, first 2 shown]
	v_pk_add_f32 v[100:101], v[48:49], v[54:55] neg_lo:[0,1] neg_hi:[0,1]
	v_pk_add_f32 v[118:119], v[48:49], v[54:55]
	s_mov_b32 s31, 0x3f575c64
	v_mov_b32_e32 v108, v118
	v_mov_b32_e32 v109, v100
	;; [unrolled: 1-line block ×3, first 2 shown]
	v_pk_add_f32 v[100:101], v[50:51], v[52:53] neg_lo:[0,1] neg_hi:[0,1]
	v_pk_add_f32 v[120:121], v[50:51], v[52:53]
	v_pk_mul_f32 v[122:123], v[112:113], s[30:31]
	s_mov_b32 s0, s31
	s_mov_b32 s1, s30
	;; [unrolled: 1-line block ×4, first 2 shown]
	v_mov_b32_e32 v110, v120
	v_mov_b32_e32 v111, v100
	;; [unrolled: 1-line block ×3, first 2 shown]
	v_pk_fma_f32 v[100:101], v[102:103], s[0:1], v[122:123] neg_lo:[0,0,1] neg_hi:[0,0,1]
	v_pk_fma_f32 v[124:125], v[102:103], s[0:1], v[122:123]
	v_pk_mul_f32 v[126:127], v[114:115], s[26:27]
	s_mov_b32 s14, s27
	s_mov_b32 s15, s26
	v_mov_b32_e32 v101, v125
	v_pk_fma_f32 v[130:131], v[104:105], s[14:15], v[126:127] neg_lo:[0,0,1] neg_hi:[0,0,1]
	v_pk_fma_f32 v[128:129], v[104:105], s[14:15], v[126:127]
	s_mov_b32 s34, 0xbf7d64f0
	v_pk_add_f32 v[100:101], v[40:41], v[100:101]
	v_mov_b32_e32 v131, v129
	s_mov_b32 s35, 0xbe11bafb
	v_pk_add_f32 v[100:101], v[130:131], v[100:101]
	v_pk_mul_f32 v[130:131], v[116:117], s[34:35]
	s_mov_b32 s22, s35
	s_mov_b32 s23, s34
	v_pk_fma_f32 v[134:135], v[106:107], s[22:23], v[130:131] neg_lo:[0,0,1] neg_hi:[0,0,1]
	v_pk_fma_f32 v[132:133], v[106:107], s[22:23], v[130:131]
	s_mov_b32 s40, 0xbf4178ce
	v_mov_b32_e32 v135, v133
	s_mov_b32 s41, 0xbf27a4f4
	v_pk_add_f32 v[100:101], v[134:135], v[100:101]
	v_pk_mul_f32 v[134:135], v[118:119], s[40:41]
	s_mov_b32 s20, s41
	s_mov_b32 s21, s40
	v_pk_fma_f32 v[138:139], v[108:109], s[20:21], v[134:135] neg_lo:[0,0,1] neg_hi:[0,0,1]
	v_pk_fma_f32 v[136:137], v[108:109], s[20:21], v[134:135]
	s_mov_b32 s42, 0xbe903f40
	v_mov_b32_e32 v139, v137
	s_mov_b32 s43, 0xbf75a155
	v_pk_add_f32 v[100:101], v[138:139], v[100:101]
	v_pk_mul_f32 v[138:139], v[120:121], s[42:43]
	s_mov_b32 s24, s43
	s_mov_b32 s25, s42
	v_pk_fma_f32 v[156:157], v[110:111], s[24:25], v[138:139] neg_lo:[0,0,1] neg_hi:[0,0,1]
	v_pk_fma_f32 v[140:141], v[110:111], s[24:25], v[138:139]
	v_mov_b32_e32 v98, v74
	v_mov_b32_e32 v157, v141
	;; [unrolled: 1-line block ×16, first 2 shown]
	v_pk_add_f32 v[100:101], v[156:157], v[100:101]
	s_barrier
	s_and_saveexec_b64 s[18:19], s[6:7]
	s_cbranch_execz .LBB0_21
; %bb.20:
	v_pk_add_f32 v[42:43], v[42:43], v[40:41]
	v_pk_mul_f32 v[156:157], v[102:103], s[0:1]
	v_pk_add_f32 v[42:43], v[44:45], v[42:43]
	v_pk_mul_f32 v[158:159], v[104:105], s[14:15]
	v_pk_add_f32 v[42:43], v[46:47], v[42:43]
	v_pk_add_f32 v[44:45], v[122:123], v[156:157] neg_lo:[0,1] neg_hi:[0,1]
	v_pk_add_f32 v[42:43], v[48:49], v[42:43]
	v_pk_mul_f32 v[160:161], v[106:107], s[22:23]
	v_pk_add_f32 v[42:43], v[50:51], v[42:43]
	v_mov_b32_e32 v125, v45
	v_pk_add_f32 v[46:47], v[126:127], v[158:159] neg_lo:[0,1] neg_hi:[0,1]
	v_pk_mul_f32 v[162:163], v[108:109], s[20:21]
	v_pk_add_f32 v[42:43], v[52:53], v[42:43]
	v_pk_add_f32 v[44:45], v[40:41], v[124:125]
	v_mov_b32_e32 v129, v47
	v_pk_add_f32 v[46:47], v[130:131], v[160:161] neg_lo:[0,1] neg_hi:[0,1]
	v_pk_mul_f32 v[164:165], v[110:111], s[24:25]
	v_pk_add_f32 v[42:43], v[54:55], v[42:43]
	v_pk_add_f32 v[44:45], v[128:129], v[44:45]
	v_mov_b32_e32 v133, v47
	v_pk_add_f32 v[46:47], v[134:135], v[162:163] neg_lo:[0,1] neg_hi:[0,1]
	v_pk_add_f32 v[42:43], v[56:57], v[42:43]
	v_pk_add_f32 v[44:45], v[132:133], v[44:45]
	v_mov_b32_e32 v137, v47
	v_pk_add_f32 v[46:47], v[138:139], v[164:165] neg_lo:[0,1] neg_hi:[0,1]
	v_pk_add_f32 v[42:43], v[58:59], v[42:43]
	v_pk_add_f32 v[44:45], v[136:137], v[44:45]
	v_mov_b32_e32 v141, v47
	v_lshlrev_b32_e32 v61, 3, v143
	v_pk_add_f32 v[42:43], v[88:89], v[42:43]
	v_pk_add_f32 v[44:45], v[140:141], v[44:45]
	ds_write2_b64 v61, v[42:43], v[44:45] offset1:1
	v_pk_mul_f32 v[42:43], v[112:113], s[26:27]
	v_pk_mul_f32 v[48:49], v[114:115], s[40:41]
	v_pk_fma_f32 v[44:45], v[102:103], s[14:15], v[42:43]
	v_pk_fma_f32 v[46:47], v[102:103], s[14:15], v[42:43] neg_lo:[1,0,0] neg_hi:[1,0,0]
	v_pk_fma_f32 v[50:51], v[104:105], s[20:21], v[48:49]
	v_mov_b32_e32 v46, v44
	v_pk_fma_f32 v[52:53], v[104:105], s[20:21], v[48:49] neg_lo:[1,0,0] neg_hi:[1,0,0]
	s_mov_b32 s29, 0x3e903f40
	v_pk_add_f32 v[46:47], v[40:41], v[46:47]
	v_mov_b32_e32 v52, v50
	s_mov_b32 s44, s29
	s_mov_b32 s45, s43
	v_pk_add_f32 v[46:47], v[52:53], v[46:47]
	s_mov_b32 s28, s43
	v_pk_mul_f32 v[52:53], v[116:117], s[44:45]
	s_mov_b32 s37, 0x3f7d64f0
	v_pk_fma_f32 v[54:55], v[106:107], s[28:29], v[52:53]
	v_pk_fma_f32 v[56:57], v[106:107], s[28:29], v[52:53] neg_lo:[1,0,0] neg_hi:[1,0,0]
	s_mov_b32 s46, s37
	v_mov_b32_e32 v56, v54
	s_mov_b32 s47, s35
	v_pk_add_f32 v[46:47], v[56:57], v[46:47]
	s_mov_b32 s36, s35
	v_pk_mul_f32 v[56:57], v[118:119], s[46:47]
	s_mov_b32 s39, 0x3f0a6770
	v_pk_fma_f32 v[58:59], v[108:109], s[36:37], v[56:57]
	v_pk_fma_f32 v[88:89], v[108:109], s[36:37], v[56:57] neg_lo:[1,0,0] neg_hi:[1,0,0]
	s_mov_b32 s48, s39
	v_mov_b32_e32 v88, v58
	s_mov_b32 s49, s31
	v_pk_add_f32 v[46:47], v[88:89], v[46:47]
	s_mov_b32 s38, s31
	v_pk_mul_f32 v[88:89], v[120:121], s[48:49]
	v_pk_mul_f32 v[126:127], v[114:115], s[44:45]
	v_pk_fma_f32 v[122:123], v[110:111], s[38:39], v[88:89]
	v_pk_fma_f32 v[124:125], v[110:111], s[38:39], v[88:89] neg_lo:[1,0,0] neg_hi:[1,0,0]
	s_mov_b32 s45, 0x3f68dda4
	v_mov_b32_e32 v124, v122
	v_pk_add_f32 v[46:47], v[124:125], v[46:47]
	v_pk_mul_f32 v[124:125], v[112:113], s[34:35]
	s_mov_b32 s26, s45
	v_pk_fma_f32 v[134:135], v[102:103], s[22:23], v[124:125]
	v_pk_fma_f32 v[136:137], v[102:103], s[22:23], v[124:125] neg_lo:[1,0,0] neg_hi:[1,0,0]
	v_pk_fma_f32 v[138:139], v[104:105], s[28:29], v[126:127]
	v_mov_b32_e32 v136, v134
	v_pk_fma_f32 v[140:141], v[104:105], s[28:29], v[126:127] neg_lo:[1,0,0] neg_hi:[1,0,0]
	s_mov_b32 s44, s27
	v_pk_mul_f32 v[128:129], v[116:117], s[26:27]
	v_pk_add_f32 v[136:137], v[40:41], v[136:137]
	v_mov_b32_e32 v140, v138
	v_pk_add_f32 v[136:137], v[140:141], v[136:137]
	v_pk_fma_f32 v[140:141], v[106:107], s[44:45], v[128:129]
	v_pk_fma_f32 v[156:157], v[106:107], s[44:45], v[128:129] neg_lo:[1,0,0] neg_hi:[1,0,0]
	v_pk_mul_f32 v[130:131], v[118:119], s[30:31]
	v_mov_b32_e32 v156, v140
	v_pk_add_f32 v[136:137], v[156:157], v[136:137]
	v_pk_fma_f32 v[156:157], v[108:109], s[0:1], v[130:131]
	v_pk_fma_f32 v[158:159], v[108:109], s[0:1], v[130:131] neg_lo:[1,0,0] neg_hi:[1,0,0]
	v_pk_mul_f32 v[132:133], v[120:121], s[40:41]
	;; [unrolled: 5-line block ×3, first 2 shown]
	v_mov_b32_e32 v160, v158
	v_pk_add_f32 v[136:137], v[160:161], v[136:137]
	ds_write2_b64 v61, v[46:47], v[136:137] offset0:2 offset1:3
	v_pk_mul_f32 v[46:47], v[112:113], s[40:41]
	v_pk_fma_f32 v[164:165], v[104:105], s[36:37], v[162:163]
	v_pk_fma_f32 v[136:137], v[102:103], s[20:21], v[46:47]
	v_pk_fma_f32 v[160:161], v[102:103], s[20:21], v[46:47] neg_lo:[1,0,0] neg_hi:[1,0,0]
	v_pk_fma_f32 v[166:167], v[104:105], s[36:37], v[162:163] neg_lo:[1,0,0] neg_hi:[1,0,0]
	v_mov_b32_e32 v160, v136
	v_pk_add_f32 v[160:161], v[40:41], v[160:161]
	v_mov_b32_e32 v166, v164
	v_pk_add_f32 v[160:161], v[166:167], v[160:161]
	v_pk_mul_f32 v[166:167], v[116:117], s[30:31]
	v_pk_mul_f32 v[112:113], v[112:113], s[42:43]
	v_pk_fma_f32 v[168:169], v[106:107], s[0:1], v[166:167]
	v_pk_fma_f32 v[170:171], v[106:107], s[0:1], v[166:167] neg_lo:[1,0,0] neg_hi:[1,0,0]
	v_pk_mul_f32 v[114:115], v[114:115], s[48:49]
	v_mov_b32_e32 v170, v168
	v_pk_add_f32 v[160:161], v[170:171], v[160:161]
	v_pk_mul_f32 v[170:171], v[118:119], s[42:43]
	v_pk_fma_f32 v[180:181], v[102:103], s[24:25], v[112:113] neg_lo:[1,0,0] neg_hi:[1,0,0]
	v_pk_fma_f32 v[172:173], v[108:109], s[24:25], v[170:171]
	v_pk_fma_f32 v[174:175], v[108:109], s[24:25], v[170:171] neg_lo:[1,0,0] neg_hi:[1,0,0]
	v_pk_fma_f32 v[182:183], v[104:105], s[38:39], v[114:115]
	v_mov_b32_e32 v174, v172
	v_pk_add_f32 v[160:161], v[174:175], v[160:161]
	v_pk_mul_f32 v[174:175], v[120:121], s[26:27]
	v_pk_fma_f32 v[184:185], v[104:105], s[38:39], v[114:115] neg_lo:[1,0,0] neg_hi:[1,0,0]
	v_pk_fma_f32 v[176:177], v[110:111], s[44:45], v[174:175]
	v_pk_fma_f32 v[178:179], v[110:111], s[44:45], v[174:175] neg_lo:[1,0,0] neg_hi:[1,0,0]
	v_pk_fma_f32 v[114:115], v[104:105], s[38:39], v[114:115] neg_lo:[0,0,1] neg_hi:[0,0,1]
	v_mov_b32_e32 v178, v176
	v_pk_add_f32 v[160:161], v[178:179], v[160:161]
	v_pk_fma_f32 v[178:179], v[102:103], s[24:25], v[112:113]
	v_pk_fma_f32 v[112:113], v[102:103], s[24:25], v[112:113] neg_lo:[0,0,1] neg_hi:[0,0,1]
	v_mov_b32_e32 v180, v178
	v_mov_b32_e32 v113, v179
	v_pk_mul_f32 v[116:117], v[116:117], s[40:41]
	v_pk_add_f32 v[180:181], v[40:41], v[180:181]
	v_mov_b32_e32 v184, v182
	v_pk_add_f32 v[112:113], v[40:41], v[112:113]
	v_mov_b32_e32 v115, v183
	v_pk_add_f32 v[180:181], v[184:185], v[180:181]
	v_pk_fma_f32 v[184:185], v[106:107], s[20:21], v[116:117]
	v_pk_fma_f32 v[186:187], v[106:107], s[20:21], v[116:117] neg_lo:[1,0,0] neg_hi:[1,0,0]
	v_pk_add_f32 v[112:113], v[114:115], v[112:113]
	v_pk_fma_f32 v[114:115], v[106:107], s[20:21], v[116:117] neg_lo:[0,0,1] neg_hi:[0,0,1]
	v_pk_mul_f32 v[118:119], v[118:119], s[26:27]
	v_mov_b32_e32 v186, v184
	v_mov_b32_e32 v115, v185
	v_pk_add_f32 v[180:181], v[186:187], v[180:181]
	v_pk_fma_f32 v[186:187], v[108:109], s[44:45], v[118:119]
	v_pk_fma_f32 v[188:189], v[108:109], s[44:45], v[118:119] neg_lo:[1,0,0] neg_hi:[1,0,0]
	v_pk_add_f32 v[112:113], v[114:115], v[112:113]
	v_pk_fma_f32 v[114:115], v[108:109], s[44:45], v[118:119] neg_lo:[0,0,1] neg_hi:[0,0,1]
	v_pk_mul_f32 v[120:121], v[120:121], s[34:35]
	v_mov_b32_e32 v188, v186
	v_mov_b32_e32 v115, v187
	v_pk_add_f32 v[180:181], v[188:189], v[180:181]
	v_pk_fma_f32 v[188:189], v[110:111], s[22:23], v[120:121]
	v_pk_add_f32 v[112:113], v[114:115], v[112:113]
	v_pk_fma_f32 v[114:115], v[110:111], s[22:23], v[120:121] neg_lo:[0,0,1] neg_hi:[0,0,1]
	v_pk_fma_f32 v[46:47], v[102:103], s[20:21], v[46:47] neg_lo:[0,0,1] neg_hi:[0,0,1]
	v_mov_b32_e32 v115, v189
	v_pk_add_f32 v[112:113], v[114:115], v[112:113]
	v_mov_b32_e32 v47, v137
	v_pk_fma_f32 v[114:115], v[104:105], s[36:37], v[162:163] neg_lo:[0,0,1] neg_hi:[0,0,1]
	v_pk_add_f32 v[46:47], v[40:41], v[46:47]
	v_mov_b32_e32 v115, v165
	v_pk_add_f32 v[46:47], v[114:115], v[46:47]
	v_pk_fma_f32 v[114:115], v[106:107], s[0:1], v[166:167] neg_lo:[0,0,1] neg_hi:[0,0,1]
	v_pk_fma_f32 v[42:43], v[102:103], s[14:15], v[42:43] neg_lo:[0,0,1] neg_hi:[0,0,1]
	v_mov_b32_e32 v115, v169
	v_pk_add_f32 v[46:47], v[114:115], v[46:47]
	v_pk_fma_f32 v[114:115], v[108:109], s[24:25], v[170:171] neg_lo:[0,0,1] neg_hi:[0,0,1]
	v_mov_b32_e32 v43, v45
	v_mov_b32_e32 v115, v173
	v_pk_add_f32 v[46:47], v[114:115], v[46:47]
	v_pk_fma_f32 v[114:115], v[110:111], s[44:45], v[174:175] neg_lo:[0,0,1] neg_hi:[0,0,1]
	v_pk_fma_f32 v[190:191], v[110:111], s[22:23], v[120:121] neg_lo:[1,0,0] neg_hi:[1,0,0]
	v_mov_b32_e32 v115, v177
	v_pk_add_f32 v[46:47], v[114:115], v[46:47]
	ds_write2_b64 v61, v[112:113], v[46:47] offset0:6 offset1:7
	v_pk_fma_f32 v[46:47], v[102:103], s[22:23], v[124:125] neg_lo:[0,0,1] neg_hi:[0,0,1]
	v_pk_fma_f32 v[112:113], v[104:105], s[28:29], v[126:127] neg_lo:[0,0,1] neg_hi:[0,0,1]
	v_mov_b32_e32 v47, v135
	v_pk_add_f32 v[46:47], v[40:41], v[46:47]
	v_pk_add_f32 v[40:41], v[40:41], v[42:43]
	v_pk_fma_f32 v[42:43], v[104:105], s[20:21], v[48:49] neg_lo:[0,0,1] neg_hi:[0,0,1]
	v_mov_b32_e32 v113, v139
	v_mov_b32_e32 v43, v51
	v_pk_add_f32 v[46:47], v[112:113], v[46:47]
	v_pk_fma_f32 v[112:113], v[106:107], s[44:45], v[128:129] neg_lo:[0,0,1] neg_hi:[0,0,1]
	v_pk_add_f32 v[40:41], v[42:43], v[40:41]
	v_pk_fma_f32 v[42:43], v[106:107], s[28:29], v[52:53] neg_lo:[0,0,1] neg_hi:[0,0,1]
	v_mov_b32_e32 v113, v141
	v_mov_b32_e32 v43, v55
	v_pk_add_f32 v[46:47], v[112:113], v[46:47]
	v_pk_fma_f32 v[112:113], v[108:109], s[0:1], v[130:131] neg_lo:[0,0,1] neg_hi:[0,0,1]
	;; [unrolled: 6-line block ×3, first 2 shown]
	v_pk_add_f32 v[40:41], v[42:43], v[40:41]
	v_pk_fma_f32 v[42:43], v[110:111], s[38:39], v[88:89] neg_lo:[0,0,1] neg_hi:[0,0,1]
	v_mov_b32_e32 v190, v188
	v_mov_b32_e32 v113, v159
	v_mov_b32_e32 v43, v123
	v_pk_add_f32 v[180:181], v[190:191], v[180:181]
	v_pk_add_f32 v[46:47], v[112:113], v[46:47]
	;; [unrolled: 1-line block ×3, first 2 shown]
	ds_write2_b64 v61, v[160:161], v[180:181] offset0:4 offset1:5
	ds_write2_b64 v61, v[46:47], v[40:41] offset0:8 offset1:9
	ds_write_b64 v61, v[100:101] offset:80
.LBB0_21:
	s_or_b64 exec, exec, s[18:19]
	v_add_u32_e32 v40, 0x3000, v63
	s_waitcnt lgkmcnt(0)
	s_barrier
	ds_read2_b64 v[40:43], v40 offset0:48 offset1:246
	v_mov_b32_e32 v88, v8
	v_mov_b32_e32 v89, v8
	v_add_u32_e32 v8, 0x1800, v63
	ds_read2_b64 v[44:47], v8 offset0:24 offset1:222
	s_waitcnt lgkmcnt(1)
	v_pk_mul_f32 v[48:49], v[74:75], v[42:43]
	v_add_u32_e32 v8, 0xc00, v63
	v_pk_fma_f32 v[50:51], v[98:99], v[42:43], v[48:49] op_sel:[0,0,1] op_sel_hi:[1,1,0]
	v_pk_fma_f32 v[42:43], v[98:99], v[42:43], v[48:49] op_sel:[0,0,1] op_sel_hi:[1,1,0] neg_lo:[0,0,1] neg_hi:[0,0,1]
	s_waitcnt lgkmcnt(0)
	v_pk_mul_f32 v[68:69], v[68:69], v[46:47]
	v_mov_b32_e32 v51, v43
	v_pk_add_f32 v[52:53], v[44:45], v[50:51] neg_lo:[0,1] neg_hi:[0,1]
	ds_read2_b64 v[48:51], v8 offset0:12 offset1:210
	v_add_u32_e32 v8, 0x2400, v63
	v_pk_mul_f32 v[42:43], v[72:73], v[40:41]
	ds_read2_b64 v[72:75], v8 offset0:36 offset1:234
	v_pk_fma_f32 v[54:55], v[96:97], v[40:41], v[42:43] op_sel:[0,0,1] op_sel_hi:[1,1,0]
	v_pk_fma_f32 v[40:41], v[96:97], v[40:41], v[42:43] op_sel:[0,0,1] op_sel_hi:[1,1,0] neg_lo:[0,0,1] neg_hi:[0,0,1]
	v_add_u32_e32 v8, 0x1400, v63
	v_mov_b32_e32 v55, v41
	s_waitcnt lgkmcnt(0)
	v_pk_mul_f32 v[40:41], v[70:71], v[74:75]
	v_pk_mul_f32 v[66:67], v[66:67], v[72:73]
	v_pk_fma_f32 v[42:43], v[94:95], v[74:75], v[40:41] op_sel:[0,0,1] op_sel_hi:[1,1,0]
	v_pk_fma_f32 v[40:41], v[94:95], v[74:75], v[40:41] op_sel:[0,0,1] op_sel_hi:[1,1,0] neg_lo:[0,0,1] neg_hi:[0,0,1]
	v_pk_fma_f32 v[74:75], v[92:93], v[72:73], v[66:67] op_sel:[0,0,1] op_sel_hi:[1,1,0]
	v_mov_b32_e32 v43, v41
	v_pk_add_f32 v[70:71], v[48:49], v[42:43] neg_lo:[0,1] neg_hi:[0,1]
	ds_read2_b64 v[40:43], v63 offset1:198
	v_pk_fma_f32 v[66:67], v[92:93], v[72:73], v[66:67] op_sel:[0,0,1] op_sel_hi:[1,1,0] neg_lo:[0,0,1] neg_hi:[0,0,1]
	v_pk_fma_f32 v[72:73], v[90:91], v[46:47], v[68:69] op_sel:[0,0,1] op_sel_hi:[1,1,0]
	v_pk_fma_f32 v[46:47], v[90:91], v[46:47], v[68:69] op_sel:[0,0,1] op_sel_hi:[1,1,0] neg_lo:[0,0,1] neg_hi:[0,0,1]
	v_mov_b32_e32 v75, v67
	v_mov_b32_e32 v73, v47
	s_waitcnt lgkmcnt(0)
	v_pk_add_f32 v[46:47], v[40:41], v[72:73] neg_lo:[0,1] neg_hi:[0,1]
	v_pk_add_f32 v[66:67], v[42:43], v[74:75] neg_lo:[0,1] neg_hi:[0,1]
	v_pk_fma_f32 v[40:41], v[40:41], 2.0, v[46:47] op_sel_hi:[1,0,1] neg_lo:[0,0,1] neg_hi:[0,0,1]
	s_barrier
	ds_write2_b64 v147, v[40:41], v[46:47] offset1:11
	v_pk_fma_f32 v[40:41], v[42:43], 2.0, v[66:67] op_sel_hi:[1,0,1] neg_lo:[0,0,1] neg_hi:[0,0,1]
	v_pk_add_f32 v[54:55], v[50:51], v[54:55] neg_lo:[0,1] neg_hi:[0,1]
	ds_write2_b64 v146, v[40:41], v[66:67] offset1:11
	v_pk_fma_f32 v[40:41], v[48:49], 2.0, v[70:71] op_sel_hi:[1,0,1] neg_lo:[0,0,1] neg_hi:[0,0,1]
	ds_write2_b64 v145, v[40:41], v[70:71] offset1:11
	v_pk_fma_f32 v[40:41], v[50:51], 2.0, v[54:55] op_sel_hi:[1,0,1] neg_lo:[0,0,1] neg_hi:[0,0,1]
	ds_write2_b64 v144, v[40:41], v[54:55] offset1:11
	v_pk_fma_f32 v[40:41], v[44:45], 2.0, v[52:53] op_sel_hi:[1,0,1] neg_lo:[0,0,1] neg_hi:[0,0,1]
	ds_write2_b64 v148, v[40:41], v[52:53] offset1:11
	s_waitcnt lgkmcnt(0)
	s_barrier
	ds_read2_b64 v[48:51], v8 offset0:20 offset1:218
	v_add_u32_e32 v8, 0x2800, v63
	ds_read2_b64 v[40:43], v63 offset1:198
	ds_read2_b64 v[44:47], v8 offset0:40 offset1:238
	ds_read_b64 v[66:67], v63 offset:3168
	ds_read_b64 v[72:73], v63 offset:8448
	;; [unrolled: 1-line block ×3, first 2 shown]
	v_mov_b32_e32 v104, v16
	v_mov_b32_e32 v105, v16
	;; [unrolled: 1-line block ×16, first 2 shown]
	s_and_saveexec_b64 s[0:1], s[2:3]
	s_cbranch_execz .LBB0_23
; %bb.22:
	ds_read_b64 v[52:53], v63 offset:4752
	ds_read_b64 v[100:101], v63 offset:10032
	;; [unrolled: 1-line block ×3, first 2 shown]
.LBB0_23:
	s_or_b64 exec, exec, s[0:1]
	s_waitcnt lgkmcnt(5)
	v_pk_mul_f32 v[74:75], v[16:17], v[48:49]
	s_waitcnt lgkmcnt(1)
	v_pk_mul_f32 v[16:17], v[4:5], v[100:101] op_sel:[0,1]
	s_waitcnt lgkmcnt(0)
	v_mov_b32_e32 v54, v87
	v_pk_mul_f32 v[54:55], v[6:7], v[54:55] op_sel_hi:[1,0]
	v_pk_fma_f32 v[90:91], v[4:5], v[100:101], v[16:17] op_sel:[0,0,1] op_sel_hi:[1,1,0]
	v_pk_fma_f32 v[4:5], v[4:5], v[100:101], v[16:17] op_sel:[0,0,1] op_sel_hi:[1,0,0] neg_lo:[1,0,0] neg_hi:[1,0,0]
	s_mov_b32 s0, 0x3f5db3d7
	v_mov_b32_e32 v91, v5
	v_pk_fma_f32 v[4:5], v[6:7], v[86:87], v[54:55] op_sel:[0,0,1] op_sel_hi:[1,1,0]
	v_pk_fma_f32 v[6:7], v[6:7], v[86:87], v[54:55] op_sel:[0,0,1] op_sel_hi:[1,0,0] neg_lo:[1,0,0] neg_hi:[1,0,0]
	v_pk_mul_f32 v[18:19], v[18:19], v[44:45]
	v_mov_b32_e32 v5, v7
	v_pk_add_f32 v[6:7], v[52:53], v[90:91]
	v_pk_mul_f32 v[12:13], v[12:13], v[50:51]
	v_pk_add_f32 v[16:17], v[6:7], v[4:5]
	v_pk_add_f32 v[6:7], v[90:91], v[4:5]
	v_pk_add_f32 v[4:5], v[90:91], v[4:5] neg_lo:[0,1] neg_hi:[0,1]
	v_pk_fma_f32 v[6:7], v[6:7], 0.5, v[52:53] op_sel_hi:[1,0,1] neg_lo:[1,0,0] neg_hi:[1,0,0]
	v_pk_mul_f32 v[4:5], v[4:5], s[0:1] op_sel_hi:[1,0]
	v_pk_mul_f32 v[14:15], v[14:15], v[46:47]
	v_pk_add_f32 v[52:53], v[4:5], v[6:7] op_sel:[1,0] op_sel_hi:[0,1]
	v_pk_add_f32 v[54:55], v[6:7], v[4:5] op_sel:[0,1] op_sel_hi:[1,0] neg_lo:[0,1] neg_hi:[0,1]
	v_pk_fma_f32 v[4:5], v[104:105], v[48:49], v[74:75] op_sel:[0,0,1] op_sel_hi:[1,1,0]
	v_pk_fma_f32 v[6:7], v[104:105], v[48:49], v[74:75] op_sel:[0,0,1] op_sel_hi:[1,1,0] neg_lo:[0,0,1] neg_hi:[0,0,1]
	s_nop 0
	v_mov_b32_e32 v5, v7
	v_pk_fma_f32 v[6:7], v[102:103], v[44:45], v[18:19] op_sel:[0,0,1] op_sel_hi:[1,1,0]
	v_pk_fma_f32 v[18:19], v[102:103], v[44:45], v[18:19] op_sel:[0,0,1] op_sel_hi:[1,1,0] neg_lo:[0,0,1] neg_hi:[0,0,1]
	s_barrier
	v_mov_b32_e32 v7, v19
	v_pk_add_f32 v[18:19], v[40:41], v[4:5]
	v_pk_add_f32 v[44:45], v[4:5], v[6:7]
	v_pk_add_f32 v[4:5], v[4:5], v[6:7] neg_lo:[0,1] neg_hi:[0,1]
	v_pk_fma_f32 v[40:41], v[44:45], 0.5, v[40:41] op_sel_hi:[1,0,1] neg_lo:[1,0,0] neg_hi:[1,0,0]
	v_pk_mul_f32 v[4:5], v[4:5], s[0:1] op_sel_hi:[1,0]
	v_pk_add_f32 v[18:19], v[18:19], v[6:7]
	v_pk_add_f32 v[6:7], v[40:41], v[4:5] op_sel:[0,1] op_sel_hi:[1,0] neg_lo:[0,1] neg_hi:[0,1]
	v_pk_add_f32 v[4:5], v[40:41], v[4:5] op_sel:[0,1] op_sel_hi:[1,0]
	s_nop 0
	v_mov_b32_e32 v41, v5
	v_mov_b32_e32 v5, v7
	;; [unrolled: 1-line block ×3, first 2 shown]
	ds_write_b64 v150, v[4:5] offset:352
	v_pk_fma_f32 v[4:5], v[58:59], v[50:51], v[12:13] op_sel:[0,0,1] op_sel_hi:[1,1,0]
	v_pk_fma_f32 v[6:7], v[58:59], v[50:51], v[12:13] op_sel:[0,0,1] op_sel_hi:[1,1,0] neg_lo:[0,0,1] neg_hi:[0,0,1]
	v_pk_fma_f32 v[12:13], v[56:57], v[46:47], v[14:15] op_sel:[0,0,1] op_sel_hi:[1,1,0] neg_lo:[0,0,1] neg_hi:[0,0,1]
	v_mov_b32_e32 v5, v7
	v_pk_fma_f32 v[6:7], v[56:57], v[46:47], v[14:15] op_sel:[0,0,1] op_sel_hi:[1,1,0]
	ds_write2_b64 v150, v[18:19], v[40:41] offset1:22
	v_mov_b32_e32 v7, v13
	v_pk_add_f32 v[12:13], v[4:5], v[6:7]
	v_pk_add_f32 v[14:15], v[4:5], v[6:7] neg_lo:[0,1] neg_hi:[0,1]
	v_pk_fma_f32 v[12:13], v[12:13], 0.5, v[42:43] op_sel_hi:[1,0,1] neg_lo:[1,0,0] neg_hi:[1,0,0]
	v_pk_mul_f32 v[14:15], v[14:15], s[0:1] op_sel_hi:[1,0]
	v_pk_add_f32 v[4:5], v[42:43], v[4:5]
	v_pk_add_f32 v[18:19], v[12:13], v[14:15] op_sel:[0,1] op_sel_hi:[1,0]
	v_pk_add_f32 v[12:13], v[12:13], v[14:15] op_sel:[0,1] op_sel_hi:[1,0] neg_lo:[0,1] neg_hi:[0,1]
	v_pk_mul_f32 v[8:9], v[8:9], v[72:73]
	v_pk_add_f32 v[4:5], v[4:5], v[6:7]
	v_mov_b32_e32 v6, v12
	v_mov_b32_e32 v7, v19
	v_pk_mul_f32 v[10:11], v[10:11], v[68:69]
	ds_write2_b64 v149, v[4:5], v[6:7] offset1:22
	v_pk_fma_f32 v[4:5], v[88:89], v[72:73], v[8:9] op_sel:[0,0,1] op_sel_hi:[1,1,0]
	v_pk_fma_f32 v[6:7], v[88:89], v[72:73], v[8:9] op_sel:[0,0,1] op_sel_hi:[1,1,0] neg_lo:[0,0,1] neg_hi:[0,0,1]
	v_pk_fma_f32 v[8:9], v[70:71], v[68:69], v[10:11] op_sel:[0,0,1] op_sel_hi:[1,1,0] neg_lo:[0,0,1] neg_hi:[0,0,1]
	v_mov_b32_e32 v5, v7
	v_pk_fma_f32 v[6:7], v[70:71], v[68:69], v[10:11] op_sel:[0,0,1] op_sel_hi:[1,1,0]
	v_mov_b32_e32 v19, v13
	v_mov_b32_e32 v7, v9
	v_pk_add_f32 v[8:9], v[4:5], v[6:7]
	v_pk_add_f32 v[10:11], v[4:5], v[6:7] neg_lo:[0,1] neg_hi:[0,1]
	v_pk_fma_f32 v[8:9], v[8:9], 0.5, v[66:67] op_sel_hi:[1,0,1] neg_lo:[1,0,0] neg_hi:[1,0,0]
	v_pk_mul_f32 v[10:11], v[10:11], s[0:1] op_sel_hi:[1,0]
	v_pk_add_f32 v[4:5], v[66:67], v[4:5]
	v_pk_add_f32 v[12:13], v[8:9], v[10:11] op_sel:[0,1] op_sel_hi:[1,0]
	v_pk_add_f32 v[8:9], v[8:9], v[10:11] op_sel:[0,1] op_sel_hi:[1,0] neg_lo:[0,1] neg_hi:[0,1]
	v_pk_add_f32 v[4:5], v[4:5], v[6:7]
	v_mov_b32_e32 v6, v8
	v_mov_b32_e32 v7, v13
	;; [unrolled: 1-line block ×3, first 2 shown]
	ds_write_b64 v149, v[18:19] offset:352
	ds_write2_b64 v151, v[4:5], v[6:7] offset1:22
	ds_write_b64 v151, v[12:13] offset:352
	s_and_saveexec_b64 s[0:1], s[2:3]
	s_cbranch_execz .LBB0_25
; %bb.24:
	s_movk_i32 s14, 0x42
	v_mad_legacy_u16 v4, v65, s14, v142
	v_lshlrev_b32_e32 v6, 3, v4
	v_mov_b32_e32 v4, v54
	v_mov_b32_e32 v5, v53
	ds_write2_b64 v6, v[16:17], v[4:5] offset1:22
	v_mov_b32_e32 v4, v52
	v_mov_b32_e32 v5, v55
	ds_write_b64 v6, v[4:5] offset:352
.LBB0_25:
	s_or_b64 exec, exec, s[0:1]
	v_add_u32_e32 v8, 0x1400, v63
	s_waitcnt lgkmcnt(0)
	s_barrier
	ds_read2_b64 v[12:15], v8 offset0:20 offset1:218
	v_add_u32_e32 v8, 0x2800, v63
	ds_read2_b64 v[4:7], v63 offset1:198
	ds_read2_b64 v[8:11], v8 offset0:40 offset1:238
	ds_read_b64 v[58:59], v63 offset:3168
	ds_read_b64 v[68:69], v63 offset:8448
	;; [unrolled: 1-line block ×3, first 2 shown]
	s_and_saveexec_b64 s[0:1], s[4:5]
	s_xor_b64 s[0:1], exec, s[0:1]
	s_or_saveexec_b64 s[0:1], s[0:1]
	v_mov_b32_e32 v90, v24
	v_mov_b32_e32 v91, v24
	;; [unrolled: 1-line block ×18, first 2 shown]
	s_xor_b64 exec, exec, s[0:1]
	s_cbranch_execz .LBB0_27
; %bb.26:
	ds_read_b64 v[18:19], v63 offset:15312
	ds_read_b64 v[54:55], v63 offset:10032
	;; [unrolled: 1-line block ×3, first 2 shown]
	s_waitcnt lgkmcnt(2)
	v_mov_b32_e32 v52, v18
	s_waitcnt lgkmcnt(1)
	v_mov_b32_e32 v53, v55
	v_mov_b32_e32 v55, v19
.LBB0_27:
	s_or_b64 exec, exec, s[0:1]
	s_waitcnt lgkmcnt(5)
	v_pk_mul_f32 v[24:25], v[24:25], v[12:13]
	s_waitcnt lgkmcnt(3)
	v_pk_mul_f32 v[26:27], v[26:27], v[8:9]
	v_pk_fma_f32 v[92:93], v[90:91], v[12:13], v[24:25] op_sel:[0,0,1] op_sel_hi:[1,1,0]
	v_pk_fma_f32 v[12:13], v[90:91], v[12:13], v[24:25] op_sel:[0,0,1] op_sel_hi:[1,1,0] neg_lo:[0,0,1] neg_hi:[0,0,1]
	s_mov_b32 s0, 0x3f5db3d7
	v_mov_b32_e32 v93, v13
	v_pk_fma_f32 v[12:13], v[88:89], v[8:9], v[26:27] op_sel:[0,0,1] op_sel_hi:[1,1,0]
	v_pk_fma_f32 v[8:9], v[88:89], v[8:9], v[26:27] op_sel:[0,0,1] op_sel_hi:[1,1,0] neg_lo:[0,0,1] neg_hi:[0,0,1]
	v_pk_mul_f32 v[20:21], v[20:21], v[14:15]
	v_mov_b32_e32 v13, v9
	v_pk_add_f32 v[8:9], v[4:5], v[92:93]
	v_pk_add_f32 v[24:25], v[92:93], v[12:13]
	;; [unrolled: 1-line block ×3, first 2 shown]
	v_pk_add_f32 v[12:13], v[92:93], v[12:13] neg_lo:[0,1] neg_hi:[0,1]
	v_pk_fma_f32 v[4:5], v[24:25], 0.5, v[4:5] op_sel_hi:[1,0,1] neg_lo:[1,0,0] neg_hi:[1,0,0]
	v_pk_mul_f32 v[12:13], v[12:13], s[0:1] op_sel_hi:[1,0]
	v_pk_mul_f32 v[22:23], v[22:23], v[10:11]
	v_pk_add_f32 v[24:25], v[4:5], v[12:13] op_sel:[0,1] op_sel_hi:[1,0] neg_lo:[0,1] neg_hi:[0,1]
	v_pk_add_f32 v[4:5], v[4:5], v[12:13] op_sel:[0,1] op_sel_hi:[1,0]
	v_mov_b32_e32 v12, v24
	v_mov_b32_e32 v13, v5
	;; [unrolled: 1-line block ×3, first 2 shown]
	s_waitcnt lgkmcnt(0)
	s_barrier
	ds_write2_b64 v153, v[8:9], v[12:13] offset1:66
	ds_write_b64 v153, v[4:5] offset:1056
	v_pk_fma_f32 v[4:5], v[86:87], v[14:15], v[20:21] op_sel:[0,0,1] op_sel_hi:[1,1,0]
	v_pk_fma_f32 v[8:9], v[86:87], v[14:15], v[20:21] op_sel:[0,0,1] op_sel_hi:[1,1,0] neg_lo:[0,0,1] neg_hi:[0,0,1]
	v_pk_mul_f32 v[32:33], v[32:33], v[68:69]
	v_mov_b32_e32 v5, v9
	v_pk_fma_f32 v[8:9], v[74:75], v[10:11], v[22:23] op_sel:[0,0,1] op_sel_hi:[1,1,0]
	v_pk_fma_f32 v[10:11], v[74:75], v[10:11], v[22:23] op_sel:[0,0,1] op_sel_hi:[1,1,0] neg_lo:[0,0,1] neg_hi:[0,0,1]
	v_pk_mul_f32 v[34:35], v[34:35], v[66:67]
	v_mov_b32_e32 v9, v11
	v_pk_add_f32 v[10:11], v[4:5], v[8:9]
	v_pk_add_f32 v[12:13], v[4:5], v[8:9] neg_lo:[0,1] neg_hi:[0,1]
	v_pk_fma_f32 v[10:11], v[10:11], 0.5, v[6:7] op_sel_hi:[1,0,1] neg_lo:[1,0,0] neg_hi:[1,0,0]
	v_pk_mul_f32 v[12:13], v[12:13], s[0:1] op_sel_hi:[1,0]
	v_pk_add_f32 v[4:5], v[6:7], v[4:5]
	v_pk_add_f32 v[14:15], v[10:11], v[12:13] op_sel:[0,1] op_sel_hi:[1,0]
	v_pk_add_f32 v[10:11], v[10:11], v[12:13] op_sel:[0,1] op_sel_hi:[1,0] neg_lo:[0,1] neg_hi:[0,1]
	v_pk_add_f32 v[4:5], v[4:5], v[8:9]
	v_mov_b32_e32 v6, v10
	v_mov_b32_e32 v7, v15
	ds_write2_b64 v152, v[4:5], v[6:7] offset1:66
	v_pk_fma_f32 v[4:5], v[72:73], v[68:69], v[32:33] op_sel:[0,0,1] op_sel_hi:[1,1,0]
	v_pk_fma_f32 v[6:7], v[72:73], v[68:69], v[32:33] op_sel:[0,0,1] op_sel_hi:[1,1,0] neg_lo:[0,0,1] neg_hi:[0,0,1]
	v_pk_fma_f32 v[8:9], v[70:71], v[66:67], v[34:35] op_sel:[0,0,1] op_sel_hi:[1,1,0] neg_lo:[0,0,1] neg_hi:[0,0,1]
	v_mov_b32_e32 v5, v7
	v_pk_fma_f32 v[6:7], v[70:71], v[66:67], v[34:35] op_sel:[0,0,1] op_sel_hi:[1,1,0]
	v_mov_b32_e32 v15, v11
	v_mov_b32_e32 v7, v9
	v_pk_add_f32 v[8:9], v[4:5], v[6:7]
	v_pk_add_f32 v[10:11], v[4:5], v[6:7] neg_lo:[0,1] neg_hi:[0,1]
	v_pk_fma_f32 v[8:9], v[8:9], 0.5, v[58:59] op_sel_hi:[1,0,1] neg_lo:[1,0,0] neg_hi:[1,0,0]
	v_pk_mul_f32 v[10:11], v[10:11], s[0:1] op_sel_hi:[1,0]
	v_pk_add_f32 v[4:5], v[58:59], v[4:5]
	v_pk_add_f32 v[12:13], v[8:9], v[10:11] op_sel:[0,1] op_sel_hi:[1,0]
	v_pk_add_f32 v[8:9], v[8:9], v[10:11] op_sel:[0,1] op_sel_hi:[1,0] neg_lo:[0,1] neg_hi:[0,1]
	v_mov_b32_e32 v56, v36
	v_mov_b32_e32 v57, v36
	;; [unrolled: 1-line block ×24, first 2 shown]
	v_pk_add_f32 v[4:5], v[4:5], v[6:7]
	v_mov_b32_e32 v6, v8
	v_mov_b32_e32 v7, v13
	;; [unrolled: 1-line block ×3, first 2 shown]
	ds_write_b64 v152, v[14:15] offset:1056
	ds_write2_b64 v155, v[4:5], v[6:7] offset1:66
	ds_write_b64 v155, v[12:13] offset:1056
	s_and_saveexec_b64 s[4:5], s[2:3]
	s_cbranch_execz .LBB0_29
; %bb.28:
	v_pk_mul_f32 v[4:5], v[0:1], v[52:53] op_sel:[0,1]
	v_pk_mul_f32 v[6:7], v[2:3], v[54:55] op_sel:[0,1]
	v_pk_fma_f32 v[8:9], v[0:1], v[54:55], v[4:5] op_sel:[0,0,1] op_sel_hi:[1,1,0]
	v_pk_fma_f32 v[0:1], v[0:1], v[54:55], v[4:5] op_sel:[0,0,1] op_sel_hi:[1,0,0] neg_lo:[1,0,0] neg_hi:[1,0,0]
	s_nop 0
	v_mov_b32_e32 v9, v1
	v_pk_fma_f32 v[0:1], v[2:3], v[52:53], v[6:7] op_sel:[0,0,1] op_sel_hi:[1,1,0]
	v_pk_fma_f32 v[2:3], v[2:3], v[52:53], v[6:7] op_sel:[0,0,1] op_sel_hi:[1,0,0] neg_lo:[1,0,0] neg_hi:[1,0,0]
	s_nop 0
	v_mov_b32_e32 v1, v3
	v_pk_add_f32 v[2:3], v[8:9], v[0:1]
	v_pk_add_f32 v[4:5], v[8:9], v[0:1] neg_lo:[0,1] neg_hi:[0,1]
	v_pk_fma_f32 v[2:3], -0.5, v[2:3], v[16:17] op_sel_hi:[0,1,1]
	v_pk_mul_f32 v[4:5], v[4:5], s[0:1] op_sel_hi:[1,0]
	s_nop 0
	v_pk_add_f32 v[6:7], v[2:3], v[4:5] op_sel:[0,1] op_sel_hi:[1,0]
	v_pk_add_f32 v[2:3], v[2:3], v[4:5] op_sel:[0,1] op_sel_hi:[1,0] neg_lo:[0,1] neg_hi:[0,1]
	v_pk_add_f32 v[4:5], v[16:17], v[8:9]
	s_nop 0
	v_pk_add_f32 v[0:1], v[4:5], v[0:1]
	v_mov_b32_e32 v4, v2
	v_mov_b32_e32 v5, v7
	v_add_u32_e32 v2, 0x3400, v154
	v_mov_b32_e32 v7, v3
	ds_write2_b64 v2, v[0:1], v[4:5] offset0:118 offset1:184
	ds_write_b64 v154, v[6:7] offset:15312
.LBB0_29:
	s_or_b64 exec, exec, s[4:5]
	v_add_u32_e32 v61, 0xc00, v63
	s_waitcnt lgkmcnt(0)
	s_barrier
	ds_read2_b64 v[4:7], v61 offset0:12 offset1:210
	v_add_u32_e32 v65, 0x1800, v63
	ds_read2_b64 v[8:11], v65 offset0:24 offset1:222
	v_add_u32_e32 v66, 0x2400, v63
	;; [unrolled: 2-line block ×3, first 2 shown]
	s_waitcnt lgkmcnt(2)
	v_pk_mul_f32 v[16:17], v[36:37], v[4:5]
	ds_read2_b64 v[20:23], v67 offset0:48 offset1:246
	v_pk_fma_f32 v[24:25], v[56:57], v[4:5], v[16:17] op_sel:[0,0,1] op_sel_hi:[1,1,0]
	v_pk_fma_f32 v[4:5], v[56:57], v[4:5], v[16:17] op_sel:[0,0,1] op_sel_hi:[1,1,0] neg_lo:[0,0,1] neg_hi:[0,0,1]
	ds_read2_b64 v[0:3], v63 offset1:198
	v_mov_b32_e32 v25, v5
	s_waitcnt lgkmcnt(3)
	v_pk_mul_f32 v[4:5], v[38:39], v[8:9]
	s_mov_b32 s0, 0x3f737871
	v_pk_fma_f32 v[16:17], v[50:51], v[8:9], v[4:5] op_sel:[0,0,1] op_sel_hi:[1,1,0]
	v_pk_fma_f32 v[4:5], v[50:51], v[8:9], v[4:5] op_sel:[0,0,1] op_sel_hi:[1,1,0] neg_lo:[0,0,1] neg_hi:[0,0,1]
	s_mov_b32 s2, 0x3f167918
	v_mov_b32_e32 v17, v5
	s_waitcnt lgkmcnt(2)
	v_pk_mul_f32 v[4:5], v[28:29], v[12:13]
	v_pk_add_f32 v[54:55], v[24:25], v[16:17] neg_lo:[0,1] neg_hi:[0,1]
	v_pk_fma_f32 v[8:9], v[48:49], v[12:13], v[4:5] op_sel:[0,0,1] op_sel_hi:[1,1,0]
	v_pk_fma_f32 v[4:5], v[48:49], v[12:13], v[4:5] op_sel:[0,0,1] op_sel_hi:[1,1,0] neg_lo:[0,0,1] neg_hi:[0,0,1]
	s_mov_b32 s4, 0x3e9e377a
	v_mov_b32_e32 v9, v5
	s_waitcnt lgkmcnt(1)
	v_pk_mul_f32 v[4:5], v[30:31], v[20:21]
	v_pk_add_f32 v[34:35], v[16:17], v[8:9] neg_lo:[0,1] neg_hi:[0,1]
	v_pk_fma_f32 v[12:13], v[46:47], v[20:21], v[4:5] op_sel:[0,0,1] op_sel_hi:[1,1,0]
	v_pk_fma_f32 v[4:5], v[46:47], v[20:21], v[4:5] op_sel:[0,0,1] op_sel_hi:[1,1,0] neg_lo:[0,0,1] neg_hi:[0,0,1]
	v_pk_add_f32 v[20:21], v[16:17], v[8:9]
	v_mov_b32_e32 v13, v5
	v_pk_add_f32 v[26:27], v[24:25], v[12:13] neg_lo:[0,1] neg_hi:[0,1]
	s_waitcnt lgkmcnt(0)
	v_pk_add_f32 v[4:5], v[0:1], v[24:25]
	v_pk_fma_f32 v[20:21], v[20:21], 0.5, v[0:1] op_sel_hi:[1,0,1] neg_lo:[1,0,0] neg_hi:[1,0,0]
	v_pk_mul_f32 v[32:33], v[26:27], s[0:1] op_sel_hi:[1,0]
	v_pk_add_f32 v[58:59], v[12:13], v[8:9] neg_lo:[0,1] neg_hi:[0,1]
	v_pk_add_f32 v[4:5], v[4:5], v[16:17]
	v_pk_mul_f32 v[52:53], v[34:35], s[2:3] op_sel_hi:[1,0]
	v_pk_add_f32 v[54:55], v[54:55], v[58:59]
	v_pk_add_f32 v[58:59], v[20:21], v[32:33] op_sel:[0,1] op_sel_hi:[1,0] neg_lo:[0,1] neg_hi:[0,1]
	v_pk_add_f32 v[4:5], v[4:5], v[8:9]
	v_pk_add_f32 v[20:21], v[20:21], v[32:33] op_sel:[0,1] op_sel_hi:[1,0]
	v_pk_add_f32 v[32:33], v[58:59], v[52:53] op_sel:[0,1] op_sel_hi:[1,0] neg_lo:[0,1] neg_hi:[0,1]
	v_pk_add_f32 v[58:59], v[24:25], v[12:13]
	v_pk_add_f32 v[4:5], v[4:5], v[12:13]
	v_pk_fma_f32 v[0:1], v[58:59], 0.5, v[0:1] op_sel_hi:[1,0,1] neg_lo:[1,0,0] neg_hi:[1,0,0]
	v_pk_add_f32 v[16:17], v[16:17], v[24:25] neg_lo:[0,1] neg_hi:[0,1]
	v_pk_add_f32 v[8:9], v[8:9], v[12:13] neg_lo:[0,1] neg_hi:[0,1]
	v_pk_mul_f32 v[12:13], v[34:35], s[0:1] op_sel_hi:[1,0]
	v_pk_add_f32 v[8:9], v[16:17], v[8:9]
	v_pk_mul_f32 v[16:17], v[26:27], s[2:3] op_sel_hi:[1,0]
	v_pk_add_f32 v[24:25], v[0:1], v[12:13] op_sel:[0,1] op_sel_hi:[1,0]
	v_pk_add_f32 v[0:1], v[0:1], v[12:13] op_sel:[0,1] op_sel_hi:[1,0] neg_lo:[0,1] neg_hi:[0,1]
	v_pk_add_f32 v[20:21], v[20:21], v[52:53] op_sel:[0,1] op_sel_hi:[1,0]
	v_pk_add_f32 v[0:1], v[0:1], v[16:17] op_sel:[0,1] op_sel_hi:[1,0]
	v_pk_add_f32 v[12:13], v[24:25], v[16:17] op_sel:[0,1] op_sel_hi:[1,0] neg_lo:[0,1] neg_hi:[0,1]
	v_mov_b32_e32 v53, v21
	v_mov_b32_e32 v16, v12
	;; [unrolled: 1-line block ×5, first 2 shown]
	v_pk_mul_f32 v[12:13], v[36:37], v[6:7]
	v_pk_fma_f32 v[16:17], v[8:9], s[4:5], v[16:17] op_sel_hi:[1,0,1]
	v_pk_fma_f32 v[0:1], v[8:9], s[4:5], v[0:1] op_sel_hi:[1,0,1]
	;; [unrolled: 1-line block ×3, first 2 shown]
	v_pk_fma_f32 v[20:21], v[56:57], v[6:7], v[12:13] op_sel:[0,0,1] op_sel_hi:[1,1,0]
	v_pk_fma_f32 v[6:7], v[56:57], v[6:7], v[12:13] op_sel:[0,0,1] op_sel_hi:[1,1,0] neg_lo:[0,0,1] neg_hi:[0,0,1]
	v_mov_b32_e32 v52, v32
	v_mov_b32_e32 v21, v7
	v_pk_mul_f32 v[6:7], v[38:39], v[10:11]
	v_pk_fma_f32 v[52:53], v[54:55], s[4:5], v[52:53] op_sel_hi:[1,0,1]
	v_pk_fma_f32 v[12:13], v[50:51], v[10:11], v[6:7] op_sel:[0,0,1] op_sel_hi:[1,1,0]
	v_pk_fma_f32 v[6:7], v[50:51], v[10:11], v[6:7] op_sel:[0,0,1] op_sel_hi:[1,1,0] neg_lo:[0,0,1] neg_hi:[0,0,1]
	s_nop 0
	v_mov_b32_e32 v13, v7
	v_pk_mul_f32 v[6:7], v[28:29], v[14:15]
	v_pk_add_f32 v[26:27], v[20:21], v[12:13] neg_lo:[0,1] neg_hi:[0,1]
	v_pk_fma_f32 v[10:11], v[48:49], v[14:15], v[6:7] op_sel:[0,0,1] op_sel_hi:[1,1,0]
	v_pk_fma_f32 v[6:7], v[48:49], v[14:15], v[6:7] op_sel:[0,0,1] op_sel_hi:[1,1,0] neg_lo:[0,0,1] neg_hi:[0,0,1]
	s_barrier
	v_mov_b32_e32 v11, v7
	v_pk_mul_f32 v[6:7], v[30:31], v[22:23]
	s_nop 0
	v_pk_fma_f32 v[14:15], v[46:47], v[22:23], v[6:7] op_sel:[0,0,1] op_sel_hi:[1,1,0]
	v_pk_fma_f32 v[6:7], v[46:47], v[22:23], v[6:7] op_sel:[0,0,1] op_sel_hi:[1,1,0] neg_lo:[0,0,1] neg_hi:[0,0,1]
	ds_write2_b64 v63, v[4:5], v[52:53] offset1:198
	ds_write2_b64 v61, v[16:17], v[0:1] offset0:12 offset1:210
	v_mov_b32_e32 v15, v7
	v_pk_add_f32 v[6:7], v[12:13], v[10:11]
	v_pk_add_f32 v[22:23], v[20:21], v[14:15] neg_lo:[0,1] neg_hi:[0,1]
	v_pk_fma_f32 v[6:7], v[6:7], 0.5, v[2:3] op_sel_hi:[1,0,1] neg_lo:[1,0,0] neg_hi:[1,0,0]
	v_pk_add_f32 v[28:29], v[14:15], v[10:11] neg_lo:[0,1] neg_hi:[0,1]
	v_pk_add_f32 v[0:1], v[2:3], v[20:21]
	v_pk_add_f32 v[24:25], v[12:13], v[10:11] neg_lo:[0,1] neg_hi:[0,1]
	v_pk_add_f32 v[26:27], v[26:27], v[28:29]
	v_pk_fma_f32 v[28:29], v[22:23], s[0:1], v[6:7] op_sel:[1,0,0] op_sel_hi:[0,0,1]
	v_pk_fma_f32 v[6:7], v[22:23], s[0:1], v[6:7] op_sel:[1,0,0] op_sel_hi:[0,0,1] neg_lo:[1,0,0] neg_hi:[1,0,0]
	v_pk_add_f32 v[0:1], v[0:1], v[12:13]
	v_pk_fma_f32 v[6:7], v[24:25], s[2:3], v[6:7] op_sel:[1,0,0] op_sel_hi:[0,0,1] neg_lo:[1,0,0] neg_hi:[1,0,0]
	v_pk_fma_f32 v[28:29], v[24:25], s[2:3], v[28:29] op_sel:[1,0,0] op_sel_hi:[0,0,1]
	v_pk_add_f32 v[0:1], v[0:1], v[10:11]
	v_mov_b32_e32 v31, v7
	v_pk_add_f32 v[0:1], v[0:1], v[14:15]
	v_mov_b32_e32 v7, v29
	v_pk_add_f32 v[4:5], v[20:21], v[14:15]
	ds_write2_b64 v65, v[8:9], v[0:1] offset0:24 offset1:222
	v_pk_fma_f32 v[0:1], v[26:27], s[4:5], v[6:7] op_sel_hi:[1,0,1]
	v_pk_fma_f32 v[2:3], v[4:5], 0.5, v[2:3] op_sel_hi:[1,0,1] neg_lo:[1,0,0] neg_hi:[1,0,0]
	v_pk_add_f32 v[4:5], v[12:13], v[20:21] neg_lo:[0,1] neg_hi:[0,1]
	v_pk_add_f32 v[6:7], v[10:11], v[14:15] neg_lo:[0,1] neg_hi:[0,1]
	v_mov_b32_e32 v30, v28
	v_pk_add_f32 v[4:5], v[4:5], v[6:7]
	v_pk_fma_f32 v[6:7], v[24:25], s[0:1], v[2:3] op_sel:[1,0,0] op_sel_hi:[0,0,1] neg_lo:[1,0,0] neg_hi:[1,0,0]
	v_pk_fma_f32 v[2:3], v[24:25], s[0:1], v[2:3] op_sel:[1,0,0] op_sel_hi:[0,0,1]
	v_pk_fma_f32 v[2:3], v[22:23], s[2:3], v[2:3] op_sel:[1,0,0] op_sel_hi:[0,0,1] neg_lo:[1,0,0] neg_hi:[1,0,0]
	v_pk_fma_f32 v[6:7], v[22:23], s[2:3], v[6:7] op_sel:[1,0,0] op_sel_hi:[0,0,1]
	v_mov_b32_e32 v9, v3
	v_mov_b32_e32 v3, v7
	;; [unrolled: 1-line block ×3, first 2 shown]
	v_pk_fma_f32 v[2:3], v[4:5], s[4:5], v[2:3] op_sel_hi:[1,0,1]
	v_pk_fma_f32 v[30:31], v[26:27], s[4:5], v[30:31] op_sel_hi:[1,0,1]
	;; [unrolled: 1-line block ×3, first 2 shown]
	ds_write2_b64 v66, v[0:1], v[2:3] offset0:36 offset1:234
	ds_write2_b64 v67, v[8:9], v[30:31] offset0:48 offset1:246
	s_waitcnt lgkmcnt(0)
	s_barrier
	ds_read2_b64 v[0:3], v65 offset0:24 offset1:222
	ds_read2_b64 v[4:7], v63 offset1:198
	ds_read2_b64 v[8:11], v66 offset0:36 offset1:234
	s_movk_i32 s2, 0x3000
	s_waitcnt lgkmcnt(2)
	v_pk_mul_f32 v[12:13], v[80:81], v[2:3]
	s_nop 0
	v_pk_fma_f32 v[14:15], v[44:45], v[2:3], v[12:13] op_sel:[0,0,1] op_sel_hi:[1,1,0]
	v_pk_fma_f32 v[2:3], v[44:45], v[2:3], v[12:13] op_sel:[0,0,1] op_sel_hi:[1,1,0] neg_lo:[0,0,1] neg_hi:[0,0,1]
	s_waitcnt lgkmcnt(0)
	v_pk_mul_f32 v[22:23], v[84:85], v[10:11]
	v_mov_b32_e32 v15, v3
	v_pk_add_f32 v[12:13], v[4:5], v[14:15] neg_lo:[0,1] neg_hi:[0,1]
	v_pk_mul_f32 v[2:3], v[78:79], v[8:9] op_sel:[1,0]
	v_pk_fma_f32 v[14:15], v[4:5], 2.0, v[12:13] op_sel_hi:[1,0,1] neg_lo:[0,0,1] neg_hi:[0,0,1]
	v_pk_fma_f32 v[4:5], v[78:79], v[8:9], v[2:3] op_sel:[0,0,1] op_sel_hi:[1,1,0]
	v_pk_fma_f32 v[2:3], v[78:79], v[8:9], v[2:3] op_sel:[0,0,1] op_sel_hi:[0,1,0] neg_lo:[0,0,1] neg_hi:[0,0,1]
	v_mov_b32_e32 v5, v3
	v_pk_add_f32 v[16:17], v[6:7], v[4:5] neg_lo:[0,1] neg_hi:[0,1]
	ds_read2_b64 v[2:5], v61 offset0:12 offset1:210
	v_pk_fma_f32 v[20:21], v[6:7], 2.0, v[16:17] op_sel_hi:[1,0,1] neg_lo:[0,0,1] neg_hi:[0,0,1]
	ds_read2_b64 v[6:9], v67 offset0:48 offset1:246
	v_pk_fma_f32 v[24:25], v[42:43], v[10:11], v[22:23] op_sel:[0,0,1] op_sel_hi:[1,1,0]
	v_pk_fma_f32 v[10:11], v[42:43], v[10:11], v[22:23] op_sel:[0,0,1] op_sel_hi:[1,1,0] neg_lo:[0,0,1] neg_hi:[0,0,1]
	s_waitcnt lgkmcnt(0)
	v_pk_mul_f32 v[22:23], v[82:83], v[6:7]
	v_mov_b32_e32 v25, v11
	v_pk_add_f32 v[10:11], v[2:3], v[24:25] neg_lo:[0,1] neg_hi:[0,1]
	v_pk_fma_f32 v[24:25], v[40:41], v[6:7], v[22:23] op_sel:[0,0,1] op_sel_hi:[1,1,0]
	v_pk_fma_f32 v[6:7], v[40:41], v[6:7], v[22:23] op_sel:[0,0,1] op_sel_hi:[1,1,0] neg_lo:[0,0,1] neg_hi:[0,0,1]
	v_pk_mul_f32 v[22:23], v[76:77], v[8:9]
	v_mov_b32_e32 v25, v7
	v_pk_add_f32 v[6:7], v[4:5], v[24:25] neg_lo:[0,1] neg_hi:[0,1]
	v_pk_fma_f32 v[24:25], v[18:19], v[8:9], v[22:23] op_sel:[0,0,1] op_sel_hi:[1,1,0]
	v_pk_fma_f32 v[8:9], v[18:19], v[8:9], v[22:23] op_sel:[0,0,1] op_sel_hi:[1,1,0] neg_lo:[0,0,1] neg_hi:[0,0,1]
	v_pk_fma_f32 v[2:3], v[2:3], 2.0, v[10:11] op_sel_hi:[1,0,1] neg_lo:[0,0,1] neg_hi:[0,0,1]
	v_mov_b32_e32 v25, v9
	v_pk_add_f32 v[8:9], v[0:1], v[24:25] neg_lo:[0,1] neg_hi:[0,1]
	v_pk_fma_f32 v[4:5], v[4:5], 2.0, v[6:7] op_sel_hi:[1,0,1] neg_lo:[0,0,1] neg_hi:[0,0,1]
	v_pk_fma_f32 v[0:1], v[0:1], 2.0, v[8:9] op_sel_hi:[1,0,1] neg_lo:[0,0,1] neg_hi:[0,0,1]
	ds_write2_b64 v63, v[14:15], v[20:21] offset1:198
	ds_write2_b64 v66, v[16:17], v[10:11] offset0:36 offset1:234
	ds_write2_b64 v61, v[2:3], v[4:5] offset0:12 offset1:210
	;; [unrolled: 1-line block ×4, first 2 shown]
	s_waitcnt lgkmcnt(0)
	s_barrier
	s_and_b64 exec, exec, s[6:7]
	s_cbranch_execz .LBB0_31
; %bb.30:
	v_mov_b32_e32 v61, 0
	s_movk_i32 s0, 0x1000
	v_lshl_add_u64 v[14:15], s[16:17], 0, v[60:61]
	global_load_dwordx2 v[8:9], v60, s[16:17]
	global_load_dwordx2 v[10:11], v60, s[16:17] offset:1440
	global_load_dwordx2 v[12:13], v60, s[16:17] offset:2880
	v_add_co_u32_e32 v16, vcc, s0, v14
	v_mad_u64_u32 v[22:23], s[0:1], s10, v64, 0
	s_nop 0
	v_addc_co_u32_e32 v17, vcc, 0, v15, vcc
	global_load_dwordx2 v[18:19], v[16:17], off offset:224
	global_load_dwordx2 v[28:29], v[16:17], off offset:1664
	v_mad_u64_u32 v[26:27], s[4:5], s8, v62, 0
	s_movk_i32 s6, 0x2000
	v_mov_b32_e32 v30, v23
	v_mov_b32_e32 v32, v27
	v_add_u32_e32 v0, 0x400, v60
	v_add_u32_e32 v4, 0x1000, v60
	v_mad_u64_u32 v[30:31], s[4:5], s11, v64, v[30:31]
	v_mad_u64_u32 v[32:33], s[4:5], s9, v62, v[32:33]
	v_add_co_u32_e32 v34, vcc, s6, v14
	ds_read_b64 v[24:25], v63
	ds_read2_b64 v[0:3], v0 offset0:52 offset1:232
	ds_read2_b64 v[4:7], v4 offset0:28 offset1:208
	v_addc_co_u32_e32 v35, vcc, 0, v15, vcc
	v_mov_b32_e32 v23, v30
	v_mov_b32_e32 v27, v32
	global_load_dwordx2 v[30:31], v[16:17], off offset:3104
	global_load_dwordx2 v[32:33], v[34:35], off offset:448
	;; [unrolled: 1-line block ×4, first 2 shown]
	v_mov_b32_e32 v20, s12
	v_mov_b32_e32 v21, s13
	v_lshl_add_u64 v[16:17], v[22:23], 3, v[20:21]
	v_lshl_add_u64 v[16:17], v[26:27], 3, v[16:17]
	s_mov_b32 s0, 0xb37565e2
	v_mov_b32_e32 v40, 0x5a0
	s_mov_b32 s1, 0x3f408cab
	s_mul_i32 s3, s9, 0x5a0
	v_mad_u64_u32 v[20:21], s[4:5], s8, v40, v[16:17]
	v_add_u32_e32 v21, s3, v21
	v_mad_u64_u32 v[22:23], s[4:5], s8, v40, v[20:21]
	v_add_u32_e32 v23, s3, v23
	s_waitcnt vmcnt(8) lgkmcnt(2)
	v_mul_f32_e32 v26, v25, v9
	v_mul_f32_e32 v9, v24, v9
	s_waitcnt vmcnt(7) lgkmcnt(1)
	v_mul_f32_e32 v27, v1, v11
	v_mul_f32_e32 v11, v0, v11
	s_waitcnt vmcnt(6)
	v_mul_f32_e32 v34, v3, v13
	v_mul_f32_e32 v13, v2, v13
	v_fmac_f32_e32 v26, v24, v8
	v_fma_f32 v8, v8, v25, -v9
	v_fmac_f32_e32 v27, v0, v10
	v_fma_f32 v10, v10, v1, -v11
	;; [unrolled: 2-line block ×3, first 2 shown]
	v_cvt_f64_f32_e32 v[0:1], v26
	v_cvt_f64_f32_e32 v[2:3], v8
	;; [unrolled: 1-line block ×6, first 2 shown]
	v_mul_f64 v[0:1], v[0:1], s[0:1]
	v_mul_f64 v[2:3], v[2:3], s[0:1]
	s_waitcnt vmcnt(5) lgkmcnt(0)
	v_mul_f32_e32 v26, v5, v19
	v_mul_f64 v[8:9], v[8:9], s[0:1]
	v_mul_f64 v[10:11], v[10:11], s[0:1]
	;; [unrolled: 1-line block ×4, first 2 shown]
	v_cvt_f32_f64_e32 v0, v[0:1]
	v_cvt_f32_f64_e32 v1, v[2:3]
	v_fmac_f32_e32 v26, v4, v18
	v_cvt_f32_f64_e32 v2, v[8:9]
	v_cvt_f32_f64_e32 v3, v[10:11]
	;; [unrolled: 1-line block ×4, first 2 shown]
	global_store_dwordx2 v[16:17], v[0:1], off
	global_store_dwordx2 v[20:21], v[2:3], off
	;; [unrolled: 1-line block ×3, first 2 shown]
	v_cvt_f64_f32_e32 v[0:1], v26
	v_mul_f64 v[0:1], v[0:1], s[0:1]
	v_cvt_f32_f64_e32 v0, v[0:1]
	v_mul_f32_e32 v1, v4, v19
	v_fma_f32 v1, v18, v5, -v1
	v_cvt_f64_f32_e32 v[2:3], v1
	v_mul_f64 v[2:3], v[2:3], s[0:1]
	v_cvt_f32_f64_e32 v1, v[2:3]
	v_mad_u64_u32 v[4:5], s[4:5], s8, v40, v[22:23]
	v_add_co_u32_e32 v2, vcc, s2, v14
	v_add_u32_e32 v5, s3, v5
	s_nop 0
	v_addc_co_u32_e32 v3, vcc, 0, v15, vcc
	global_load_dwordx2 v[8:9], v[2:3], off offset:672
	s_nop 0
	global_store_dwordx2 v[4:5], v[0:1], off
	s_waitcnt vmcnt(9)
	v_mul_f32_e32 v0, v7, v29
	v_fmac_f32_e32 v0, v6, v28
	v_cvt_f64_f32_e32 v[0:1], v0
	v_mul_f64 v[0:1], v[0:1], s[0:1]
	v_cvt_f32_f64_e32 v10, v[0:1]
	v_mul_f32_e32 v0, v6, v29
	v_fma_f32 v0, v28, v7, -v0
	global_load_dwordx2 v[6:7], v[2:3], off offset:2112
	v_cvt_f64_f32_e32 v[0:1], v0
	v_mul_f64 v[0:1], v[0:1], s[0:1]
	v_cvt_f32_f64_e32 v11, v[0:1]
	v_add_u32_e32 v0, 0x1c00, v60
	ds_read2_b64 v[0:3], v0 offset0:4 offset1:184
	v_mad_u64_u32 v[4:5], s[4:5], s8, v40, v[4:5]
	v_add_u32_e32 v5, s3, v5
	global_store_dwordx2 v[4:5], v[10:11], off
	s_waitcnt vmcnt(10) lgkmcnt(0)
	v_mul_f32_e32 v10, v1, v31
	v_fmac_f32_e32 v10, v0, v30
	v_mul_f32_e32 v0, v0, v31
	v_fma_f32 v0, v30, v1, -v0
	v_cvt_f64_f32_e32 v[10:11], v10
	v_cvt_f64_f32_e32 v[0:1], v0
	v_mul_f64 v[10:11], v[10:11], s[0:1]
	v_mul_f64 v[0:1], v[0:1], s[0:1]
	v_cvt_f32_f64_e32 v10, v[10:11]
	v_cvt_f32_f64_e32 v11, v[0:1]
	s_waitcnt vmcnt(9)
	v_mul_f32_e32 v0, v3, v33
	v_fmac_f32_e32 v0, v2, v32
	v_mad_u64_u32 v[4:5], s[4:5], s8, v40, v[4:5]
	v_cvt_f64_f32_e32 v[0:1], v0
	v_add_u32_e32 v5, s3, v5
	v_mul_f64 v[0:1], v[0:1], s[0:1]
	global_store_dwordx2 v[4:5], v[10:11], off
	v_cvt_f32_f64_e32 v10, v[0:1]
	v_mul_f32_e32 v0, v2, v33
	v_fma_f32 v0, v32, v3, -v0
	v_cvt_f64_f32_e32 v[0:1], v0
	v_mul_f64 v[0:1], v[0:1], s[0:1]
	v_cvt_f32_f64_e32 v11, v[0:1]
	v_add_u32_e32 v0, 0x2600, v60
	ds_read2_b64 v[0:3], v0 offset0:44 offset1:224
	v_mad_u64_u32 v[4:5], s[4:5], s8, v40, v[4:5]
	v_add_u32_e32 v5, s3, v5
	global_store_dwordx2 v[4:5], v[10:11], off
	s_waitcnt vmcnt(10) lgkmcnt(0)
	v_mul_f32_e32 v10, v1, v37
	v_fmac_f32_e32 v10, v0, v36
	v_mul_f32_e32 v0, v0, v37
	v_fma_f32 v0, v36, v1, -v0
	v_cvt_f64_f32_e32 v[10:11], v10
	v_cvt_f64_f32_e32 v[0:1], v0
	v_mul_f64 v[10:11], v[10:11], s[0:1]
	v_mul_f64 v[0:1], v[0:1], s[0:1]
	v_cvt_f32_f64_e32 v10, v[10:11]
	v_cvt_f32_f64_e32 v11, v[0:1]
	s_waitcnt vmcnt(9)
	v_mul_f32_e32 v0, v3, v39
	v_fmac_f32_e32 v0, v2, v38
	v_mad_u64_u32 v[4:5], s[4:5], s8, v40, v[4:5]
	v_cvt_f64_f32_e32 v[0:1], v0
	v_add_u32_e32 v5, s3, v5
	v_mul_f64 v[0:1], v[0:1], s[0:1]
	global_store_dwordx2 v[4:5], v[10:11], off
	v_cvt_f32_f64_e32 v10, v[0:1]
	v_mul_f32_e32 v0, v2, v39
	v_fma_f32 v0, v38, v3, -v0
	v_cvt_f64_f32_e32 v[0:1], v0
	v_mul_f64 v[0:1], v[0:1], s[0:1]
	v_cvt_f32_f64_e32 v11, v[0:1]
	v_add_u32_e32 v0, 0x3200, v60
	ds_read2_b64 v[0:3], v0 offset0:20 offset1:200
	v_mad_u64_u32 v[4:5], s[4:5], s8, v40, v[4:5]
	v_add_u32_e32 v5, s3, v5
	global_store_dwordx2 v[4:5], v[10:11], off
	s_waitcnt vmcnt(7) lgkmcnt(0)
	v_mul_f32_e32 v10, v1, v9
	v_fmac_f32_e32 v10, v0, v8
	v_mul_f32_e32 v0, v0, v9
	v_fma_f32 v0, v8, v1, -v0
	v_cvt_f64_f32_e32 v[10:11], v10
	v_cvt_f64_f32_e32 v[0:1], v0
	v_mul_f64 v[10:11], v[10:11], s[0:1]
	v_mul_f64 v[0:1], v[0:1], s[0:1]
	v_cvt_f32_f64_e32 v10, v[10:11]
	v_cvt_f32_f64_e32 v11, v[0:1]
	v_mad_u64_u32 v[0:1], s[4:5], s8, v40, v[4:5]
	s_waitcnt vmcnt(5)
	v_mul_f32_e32 v4, v3, v7
	v_fmac_f32_e32 v4, v2, v6
	v_mul_f32_e32 v2, v2, v7
	v_fma_f32 v2, v6, v3, -v2
	v_add_u32_e32 v1, s3, v1
	v_cvt_f64_f32_e32 v[4:5], v4
	v_cvt_f64_f32_e32 v[2:3], v2
	global_store_dwordx2 v[0:1], v[10:11], off
	v_mul_f64 v[4:5], v[4:5], s[0:1]
	v_mul_f64 v[2:3], v[2:3], s[0:1]
	v_mad_u64_u32 v[0:1], s[0:1], s8, v40, v[0:1]
	v_cvt_f32_f64_e32 v4, v[4:5]
	v_cvt_f32_f64_e32 v5, v[2:3]
	v_add_u32_e32 v1, s3, v1
	global_store_dwordx2 v[0:1], v[4:5], off
.LBB0_31:
	s_endpgm
	.section	.rodata,"a",@progbits
	.p2align	6, 0x0
	.amdhsa_kernel bluestein_single_back_len1980_dim1_sp_op_CI_CI
		.amdhsa_group_segment_fixed_size 15840
		.amdhsa_private_segment_fixed_size 0
		.amdhsa_kernarg_size 104
		.amdhsa_user_sgpr_count 2
		.amdhsa_user_sgpr_dispatch_ptr 0
		.amdhsa_user_sgpr_queue_ptr 0
		.amdhsa_user_sgpr_kernarg_segment_ptr 1
		.amdhsa_user_sgpr_dispatch_id 0
		.amdhsa_user_sgpr_kernarg_preload_length 0
		.amdhsa_user_sgpr_kernarg_preload_offset 0
		.amdhsa_user_sgpr_private_segment_size 0
		.amdhsa_uses_dynamic_stack 0
		.amdhsa_enable_private_segment 0
		.amdhsa_system_sgpr_workgroup_id_x 1
		.amdhsa_system_sgpr_workgroup_id_y 0
		.amdhsa_system_sgpr_workgroup_id_z 0
		.amdhsa_system_sgpr_workgroup_info 0
		.amdhsa_system_vgpr_workitem_id 0
		.amdhsa_next_free_vgpr 192
		.amdhsa_next_free_sgpr 50
		.amdhsa_accum_offset 192
		.amdhsa_reserve_vcc 1
		.amdhsa_float_round_mode_32 0
		.amdhsa_float_round_mode_16_64 0
		.amdhsa_float_denorm_mode_32 3
		.amdhsa_float_denorm_mode_16_64 3
		.amdhsa_dx10_clamp 1
		.amdhsa_ieee_mode 1
		.amdhsa_fp16_overflow 0
		.amdhsa_tg_split 0
		.amdhsa_exception_fp_ieee_invalid_op 0
		.amdhsa_exception_fp_denorm_src 0
		.amdhsa_exception_fp_ieee_div_zero 0
		.amdhsa_exception_fp_ieee_overflow 0
		.amdhsa_exception_fp_ieee_underflow 0
		.amdhsa_exception_fp_ieee_inexact 0
		.amdhsa_exception_int_div_zero 0
	.end_amdhsa_kernel
	.text
.Lfunc_end0:
	.size	bluestein_single_back_len1980_dim1_sp_op_CI_CI, .Lfunc_end0-bluestein_single_back_len1980_dim1_sp_op_CI_CI
                                        ; -- End function
	.section	.AMDGPU.csdata,"",@progbits
; Kernel info:
; codeLenInByte = 14184
; NumSgprs: 56
; NumVgprs: 192
; NumAgprs: 0
; TotalNumVgprs: 192
; ScratchSize: 0
; MemoryBound: 0
; FloatMode: 240
; IeeeMode: 1
; LDSByteSize: 15840 bytes/workgroup (compile time only)
; SGPRBlocks: 6
; VGPRBlocks: 23
; NumSGPRsForWavesPerEU: 56
; NumVGPRsForWavesPerEU: 192
; AccumOffset: 192
; Occupancy: 2
; WaveLimiterHint : 1
; COMPUTE_PGM_RSRC2:SCRATCH_EN: 0
; COMPUTE_PGM_RSRC2:USER_SGPR: 2
; COMPUTE_PGM_RSRC2:TRAP_HANDLER: 0
; COMPUTE_PGM_RSRC2:TGID_X_EN: 1
; COMPUTE_PGM_RSRC2:TGID_Y_EN: 0
; COMPUTE_PGM_RSRC2:TGID_Z_EN: 0
; COMPUTE_PGM_RSRC2:TIDIG_COMP_CNT: 0
; COMPUTE_PGM_RSRC3_GFX90A:ACCUM_OFFSET: 47
; COMPUTE_PGM_RSRC3_GFX90A:TG_SPLIT: 0
	.text
	.p2alignl 6, 3212836864
	.fill 256, 4, 3212836864
	.type	__hip_cuid_d9734d3e73ae34ca,@object ; @__hip_cuid_d9734d3e73ae34ca
	.section	.bss,"aw",@nobits
	.globl	__hip_cuid_d9734d3e73ae34ca
__hip_cuid_d9734d3e73ae34ca:
	.byte	0                               ; 0x0
	.size	__hip_cuid_d9734d3e73ae34ca, 1

	.ident	"AMD clang version 19.0.0git (https://github.com/RadeonOpenCompute/llvm-project roc-6.4.0 25133 c7fe45cf4b819c5991fe208aaa96edf142730f1d)"
	.section	".note.GNU-stack","",@progbits
	.addrsig
	.addrsig_sym __hip_cuid_d9734d3e73ae34ca
	.amdgpu_metadata
---
amdhsa.kernels:
  - .agpr_count:     0
    .args:
      - .actual_access:  read_only
        .address_space:  global
        .offset:         0
        .size:           8
        .value_kind:     global_buffer
      - .actual_access:  read_only
        .address_space:  global
        .offset:         8
        .size:           8
        .value_kind:     global_buffer
      - .actual_access:  read_only
        .address_space:  global
        .offset:         16
        .size:           8
        .value_kind:     global_buffer
      - .actual_access:  read_only
        .address_space:  global
        .offset:         24
        .size:           8
        .value_kind:     global_buffer
      - .actual_access:  read_only
        .address_space:  global
        .offset:         32
        .size:           8
        .value_kind:     global_buffer
      - .offset:         40
        .size:           8
        .value_kind:     by_value
      - .address_space:  global
        .offset:         48
        .size:           8
        .value_kind:     global_buffer
      - .address_space:  global
        .offset:         56
        .size:           8
        .value_kind:     global_buffer
      - .address_space:  global
        .offset:         64
        .size:           8
        .value_kind:     global_buffer
      - .address_space:  global
        .offset:         72
        .size:           8
        .value_kind:     global_buffer
      - .offset:         80
        .size:           4
        .value_kind:     by_value
      - .address_space:  global
        .offset:         88
        .size:           8
        .value_kind:     global_buffer
      - .address_space:  global
        .offset:         96
        .size:           8
        .value_kind:     global_buffer
    .group_segment_fixed_size: 15840
    .kernarg_segment_align: 8
    .kernarg_segment_size: 104
    .language:       OpenCL C
    .language_version:
      - 2
      - 0
    .max_flat_workgroup_size: 198
    .name:           bluestein_single_back_len1980_dim1_sp_op_CI_CI
    .private_segment_fixed_size: 0
    .sgpr_count:     56
    .sgpr_spill_count: 0
    .symbol:         bluestein_single_back_len1980_dim1_sp_op_CI_CI.kd
    .uniform_work_group_size: 1
    .uses_dynamic_stack: false
    .vgpr_count:     192
    .vgpr_spill_count: 0
    .wavefront_size: 64
amdhsa.target:   amdgcn-amd-amdhsa--gfx950
amdhsa.version:
  - 1
  - 2
...

	.end_amdgpu_metadata
